;; amdgpu-corpus repo=ROCm/rocFFT kind=compiled arch=gfx950 opt=O3
	.text
	.amdgcn_target "amdgcn-amd-amdhsa--gfx950"
	.amdhsa_code_object_version 6
	.protected	bluestein_single_fwd_len884_dim1_half_op_CI_CI ; -- Begin function bluestein_single_fwd_len884_dim1_half_op_CI_CI
	.globl	bluestein_single_fwd_len884_dim1_half_op_CI_CI
	.p2align	8
	.type	bluestein_single_fwd_len884_dim1_half_op_CI_CI,@function
bluestein_single_fwd_len884_dim1_half_op_CI_CI: ; @bluestein_single_fwd_len884_dim1_half_op_CI_CI
; %bb.0:
	s_load_dwordx4 s[16:19], s[0:1], 0x28
	v_mul_u32_u24_e32 v1, 0x3c4, v0
	v_lshrrev_b32_e32 v2, 16, v1
	v_mad_u64_u32 v[34:35], s[2:3], s2, 3, v[2:3]
	v_mov_b32_e32 v37, 0
	v_mov_b32_e32 v35, v37
	s_waitcnt lgkmcnt(0)
	v_cmp_gt_u64_e32 vcc, s[16:17], v[34:35]
	s_and_saveexec_b64 s[2:3], vcc
	s_cbranch_execz .LBB0_18
; %bb.1:
	s_load_dwordx4 s[4:7], s[0:1], 0x18
	s_load_dwordx4 s[8:11], s[0:1], 0x0
	v_mul_lo_u16_e32 v1, 0x44, v2
	v_sub_u16_e32 v32, v0, v1
	v_mov_b32_e32 v4, s18
	s_waitcnt lgkmcnt(0)
	s_load_dwordx4 s[12:15], s[4:5], 0x0
	v_mov_b32_e32 v5, s19
	v_lshlrev_b32_e32 v36, 2, v32
	global_load_dword v65, v36, s[8:9]
	s_mov_b32 s4, 0xaaaaaaab
	s_waitcnt lgkmcnt(0)
	v_mad_u64_u32 v[0:1], s[2:3], s14, v34, 0
	v_mov_b32_e32 v2, v1
	v_mad_u64_u32 v[2:3], s[2:3], s15, v34, v[2:3]
	v_mov_b32_e32 v1, v2
	;; [unrolled: 2-line block ×4, first 2 shown]
	v_lshl_add_u64 v[0:1], v[0:1], 2, v[4:5]
	v_lshl_add_u64 v[0:1], v[2:3], 2, v[0:1]
	global_load_dword v2, v[0:1], off
	v_mov_b32_e32 v3, 0x110
	v_mad_u64_u32 v[0:1], s[2:3], s12, v3, v[0:1]
	s_mulk_i32 s13, 0x110
	v_add_u32_e32 v1, s13, v1
	global_load_dword v4, v[0:1], off
	global_load_dword v64, v36, s[8:9] offset:272
	v_mad_u64_u32 v[0:1], s[2:3], s12, v3, v[0:1]
	v_add_u32_e32 v1, s13, v1
	global_load_dword v5, v[0:1], off
	global_load_dword v63, v36, s[8:9] offset:544
	v_mad_u64_u32 v[0:1], s[2:3], s12, v3, v[0:1]
	;; [unrolled: 4-line block ×9, first 2 shown]
	v_add_u32_e32 v1, s13, v1
	v_mul_hi_u32 v10, v34, s4
	s_load_dwordx4 s[4:7], s[6:7], 0x0
	global_load_dword v14, v[0:1], off
	global_load_dword v55, v36, s[8:9] offset:2720
	global_load_dword v35, v36, s[8:9] offset:2992
	;; [unrolled: 1-line block ×3, first 2 shown]
	v_mad_u64_u32 v[0:1], s[2:3], s12, v3, v[0:1]
	v_add_u32_e32 v1, s13, v1
	global_load_dword v15, v[0:1], off
	v_mad_u64_u32 v[0:1], s[2:3], s12, v3, v[0:1]
	v_add_u32_e32 v1, s13, v1
	global_load_dword v0, v[0:1], off
	v_lshrrev_b32_e32 v10, 1, v10
	v_lshl_add_u32 v10, v10, 1, v10
	v_sub_u32_e32 v10, v34, v10
	v_mul_u32_u24_e32 v10, 0x374, v10
	v_lshlrev_b32_e32 v66, 2, v10
	v_add_u32_e32 v54, v36, v66
	s_movk_i32 s14, 0x3b15
	s_movk_i32 s13, 0x388b
	;; [unrolled: 1-line block ×3, first 2 shown]
	s_mov_b32 s15, 0xb5ac
	s_mov_b32 s16, 0xb9fd
	;; [unrolled: 1-line block ×3, first 2 shown]
	s_load_dwordx2 s[2:3], s[0:1], 0x38
	v_cmp_gt_u16_e32 vcc, 17, v32
	s_waitcnt vmcnt(24)
	v_lshrrev_b32_e32 v1, 16, v2
	v_mul_f16_sdwa v3, v65, v2 dst_sel:DWORD dst_unused:UNUSED_PAD src0_sel:WORD_1 src1_sel:DWORD
	v_mul_f16_sdwa v10, v65, v1 dst_sel:DWORD dst_unused:UNUSED_PAD src0_sel:WORD_1 src1_sel:DWORD
	v_fma_f16 v2, v65, v2, v10
	v_fma_f16 v1, v65, v1, -v3
	v_pack_b32_f16 v1, v2, v1
	s_waitcnt vmcnt(23)
	v_lshrrev_b32_e32 v2, 16, v4
	s_waitcnt vmcnt(22)
	v_mul_f16_sdwa v3, v64, v2 dst_sel:DWORD dst_unused:UNUSED_PAD src0_sel:WORD_1 src1_sel:DWORD
	v_fma_f16 v3, v64, v4, v3
	v_mul_f16_sdwa v4, v64, v4 dst_sel:DWORD dst_unused:UNUSED_PAD src0_sel:WORD_1 src1_sel:DWORD
	v_fma_f16 v2, v64, v2, -v4
	v_pack_b32_f16 v2, v3, v2
	ds_write2_b32 v54, v1, v2 offset1:68
	s_waitcnt vmcnt(21)
	v_lshrrev_b32_e32 v1, 16, v5
	s_waitcnt vmcnt(20)
	v_mul_f16_sdwa v2, v63, v1 dst_sel:DWORD dst_unused:UNUSED_PAD src0_sel:WORD_1 src1_sel:DWORD
	v_mul_f16_sdwa v3, v63, v5 dst_sel:DWORD dst_unused:UNUSED_PAD src0_sel:WORD_1 src1_sel:DWORD
	v_fma_f16 v2, v63, v5, v2
	v_fma_f16 v1, v63, v1, -v3
	v_pack_b32_f16 v1, v2, v1
	s_waitcnt vmcnt(19)
	v_lshrrev_b32_e32 v2, 16, v6
	s_waitcnt vmcnt(18)
	v_mul_f16_sdwa v3, v62, v2 dst_sel:DWORD dst_unused:UNUSED_PAD src0_sel:WORD_1 src1_sel:DWORD
	v_mul_f16_sdwa v4, v62, v6 dst_sel:DWORD dst_unused:UNUSED_PAD src0_sel:WORD_1 src1_sel:DWORD
	v_fma_f16 v3, v62, v6, v3
	v_fma_f16 v2, v62, v2, -v4
	v_pack_b32_f16 v2, v3, v2
	ds_write2_b32 v54, v1, v2 offset0:136 offset1:204
	s_waitcnt vmcnt(17)
	v_lshrrev_b32_e32 v1, 16, v7
	s_waitcnt vmcnt(16)
	v_mul_f16_sdwa v2, v61, v1 dst_sel:DWORD dst_unused:UNUSED_PAD src0_sel:WORD_1 src1_sel:DWORD
	v_mul_f16_sdwa v3, v61, v7 dst_sel:DWORD dst_unused:UNUSED_PAD src0_sel:WORD_1 src1_sel:DWORD
	v_fma_f16 v2, v61, v7, v2
	v_fma_f16 v1, v61, v1, -v3
	v_pack_b32_f16 v1, v2, v1
	s_waitcnt vmcnt(15)
	v_lshrrev_b32_e32 v2, 16, v8
	s_waitcnt vmcnt(14)
	v_mul_f16_sdwa v3, v60, v2 dst_sel:DWORD dst_unused:UNUSED_PAD src0_sel:WORD_1 src1_sel:DWORD
	v_mul_f16_sdwa v4, v60, v8 dst_sel:DWORD dst_unused:UNUSED_PAD src0_sel:WORD_1 src1_sel:DWORD
	v_fma_f16 v3, v60, v8, v3
	v_fma_f16 v2, v60, v2, -v4
	v_pack_b32_f16 v2, v3, v2
	v_add_u32_e32 v8, 0x400, v54
	ds_write2_b32 v8, v1, v2 offset0:16 offset1:84
	s_waitcnt vmcnt(13)
	v_lshrrev_b32_e32 v1, 16, v9
	s_waitcnt vmcnt(12)
	v_mul_f16_sdwa v2, v59, v1 dst_sel:DWORD dst_unused:UNUSED_PAD src0_sel:WORD_1 src1_sel:DWORD
	v_mul_f16_sdwa v3, v59, v9 dst_sel:DWORD dst_unused:UNUSED_PAD src0_sel:WORD_1 src1_sel:DWORD
	v_fma_f16 v2, v59, v9, v2
	v_fma_f16 v1, v59, v1, -v3
	v_pack_b32_f16 v1, v2, v1
	s_waitcnt vmcnt(11)
	v_lshrrev_b32_e32 v2, 16, v11
	s_waitcnt vmcnt(10)
	v_mul_f16_sdwa v3, v58, v2 dst_sel:DWORD dst_unused:UNUSED_PAD src0_sel:WORD_1 src1_sel:DWORD
	v_mul_f16_sdwa v4, v58, v11 dst_sel:DWORD dst_unused:UNUSED_PAD src0_sel:WORD_1 src1_sel:DWORD
	v_fma_f16 v3, v58, v11, v3
	v_fma_f16 v2, v58, v2, -v4
	v_pack_b32_f16 v2, v3, v2
	ds_write2_b32 v8, v1, v2 offset0:152 offset1:220
	s_waitcnt vmcnt(9)
	v_lshrrev_b32_e32 v1, 16, v12
	s_waitcnt vmcnt(8)
	v_mul_f16_sdwa v2, v57, v1 dst_sel:DWORD dst_unused:UNUSED_PAD src0_sel:WORD_1 src1_sel:DWORD
	v_mul_f16_sdwa v3, v57, v12 dst_sel:DWORD dst_unused:UNUSED_PAD src0_sel:WORD_1 src1_sel:DWORD
	v_fma_f16 v2, v57, v12, v2
	v_fma_f16 v1, v57, v1, -v3
	v_pack_b32_f16 v1, v2, v1
	s_waitcnt vmcnt(7)
	v_lshrrev_b32_e32 v2, 16, v13
	s_waitcnt vmcnt(6)
	v_mul_f16_sdwa v3, v56, v2 dst_sel:DWORD dst_unused:UNUSED_PAD src0_sel:WORD_1 src1_sel:DWORD
	v_mul_f16_sdwa v4, v56, v13 dst_sel:DWORD dst_unused:UNUSED_PAD src0_sel:WORD_1 src1_sel:DWORD
	v_fma_f16 v3, v56, v13, v3
	v_fma_f16 v2, v56, v2, -v4
	v_pack_b32_f16 v2, v3, v2
	v_add_u32_e32 v6, 0x800, v54
	ds_write2_b32 v6, v1, v2 offset0:32 offset1:100
	s_waitcnt vmcnt(5)
	v_lshrrev_b32_e32 v1, 16, v14
	s_waitcnt vmcnt(4)
	v_mul_f16_sdwa v2, v55, v1 dst_sel:DWORD dst_unused:UNUSED_PAD src0_sel:WORD_1 src1_sel:DWORD
	v_mul_f16_sdwa v3, v55, v14 dst_sel:DWORD dst_unused:UNUSED_PAD src0_sel:WORD_1 src1_sel:DWORD
	v_fma_f16 v2, v55, v14, v2
	v_fma_f16 v1, v55, v1, -v3
	v_pack_b32_f16 v1, v2, v1
	s_waitcnt vmcnt(1)
	v_lshrrev_b32_e32 v2, 16, v15
	v_mul_f16_sdwa v3, v35, v2 dst_sel:DWORD dst_unused:UNUSED_PAD src0_sel:WORD_1 src1_sel:DWORD
	v_mul_f16_sdwa v4, v35, v15 dst_sel:DWORD dst_unused:UNUSED_PAD src0_sel:WORD_1 src1_sel:DWORD
	v_fma_f16 v3, v35, v15, v3
	v_fma_f16 v2, v35, v2, -v4
	v_pack_b32_f16 v2, v3, v2
	ds_write2_b32 v6, v1, v2 offset0:168 offset1:236
	s_waitcnt vmcnt(0)
	v_lshrrev_b32_e32 v1, 16, v0
	v_mul_f16_sdwa v2, v33, v1 dst_sel:DWORD dst_unused:UNUSED_PAD src0_sel:WORD_1 src1_sel:DWORD
	v_fma_f16 v2, v33, v0, v2
	v_mul_f16_sdwa v0, v33, v0 dst_sel:DWORD dst_unused:UNUSED_PAD src0_sel:WORD_1 src1_sel:DWORD
	v_fma_f16 v0, v33, v1, -v0
	v_pack_b32_f16 v0, v2, v0
	ds_write_b32 v54, v0 offset:3264
	s_waitcnt lgkmcnt(0)
	s_barrier
	ds_read2_b32 v[10:11], v54 offset1:68
	ds_read2_b32 v[12:13], v54 offset0:136 offset1:204
	ds_read2_b32 v[2:3], v8 offset0:16 offset1:84
	ds_read2_b32 v[0:1], v8 offset0:152 offset1:220
	ds_read2_b32 v[4:5], v6 offset0:32 offset1:100
	ds_read2_b32 v[14:15], v6 offset0:168 offset1:236
	ds_read_b32 v7, v54 offset:3264
	s_waitcnt lgkmcnt(6)
	v_add_f16_e32 v9, v10, v11
	v_add_f16_sdwa v16, v10, v11 dst_sel:DWORD dst_unused:UNUSED_PAD src0_sel:WORD_1 src1_sel:WORD_1
	s_waitcnt lgkmcnt(5)
	v_add_f16_e32 v9, v9, v12
	v_add_f16_sdwa v16, v16, v12 dst_sel:DWORD dst_unused:UNUSED_PAD src0_sel:DWORD src1_sel:WORD_1
	v_add_f16_e32 v9, v9, v13
	v_add_f16_sdwa v16, v16, v13 dst_sel:DWORD dst_unused:UNUSED_PAD src0_sel:DWORD src1_sel:WORD_1
	s_waitcnt lgkmcnt(4)
	v_add_f16_e32 v9, v9, v2
	v_add_f16_sdwa v16, v16, v2 dst_sel:DWORD dst_unused:UNUSED_PAD src0_sel:DWORD src1_sel:WORD_1
	v_add_f16_e32 v9, v9, v3
	v_add_f16_sdwa v16, v16, v3 dst_sel:DWORD dst_unused:UNUSED_PAD src0_sel:DWORD src1_sel:WORD_1
	;; [unrolled: 5-line block ×4, first 2 shown]
	s_waitcnt lgkmcnt(1)
	v_add_f16_e32 v9, v9, v14
	v_add_f16_sdwa v16, v16, v14 dst_sel:DWORD dst_unused:UNUSED_PAD src0_sel:DWORD src1_sel:WORD_1
	s_waitcnt lgkmcnt(0)
	v_add_f16_e32 v17, v7, v11
	v_add_f16_sdwa v18, v7, v11 dst_sel:DWORD dst_unused:UNUSED_PAD src0_sel:WORD_1 src1_sel:WORD_1
	v_sub_f16_e32 v19, v11, v7
	v_sub_f16_sdwa v11, v11, v7 dst_sel:DWORD dst_unused:UNUSED_PAD src0_sel:WORD_1 src1_sel:WORD_1
	v_add_f16_e32 v9, v9, v15
	v_add_f16_sdwa v16, v16, v15 dst_sel:DWORD dst_unused:UNUSED_PAD src0_sel:DWORD src1_sel:WORD_1
	v_mul_f16_e32 v20, 0xb770, v11
	v_mul_f16_e32 v22, 0xb770, v19
	;; [unrolled: 1-line block ×6, first 2 shown]
	v_add_f16_e32 v31, v15, v12
	v_add_f16_sdwa v38, v15, v12 dst_sel:DWORD dst_unused:UNUSED_PAD src0_sel:WORD_1 src1_sel:WORD_1
	v_sub_f16_e32 v39, v12, v15
	v_sub_f16_sdwa v12, v12, v15 dst_sel:DWORD dst_unused:UNUSED_PAD src0_sel:WORD_1 src1_sel:WORD_1
	v_add_f16_e32 v15, v14, v13
	v_add_f16_sdwa v40, v14, v13 dst_sel:DWORD dst_unused:UNUSED_PAD src0_sel:WORD_1 src1_sel:WORD_1
	v_sub_f16_e32 v41, v13, v14
	v_sub_f16_sdwa v13, v13, v14 dst_sel:DWORD dst_unused:UNUSED_PAD src0_sel:WORD_1 src1_sel:WORD_1
	v_mul_f16_e32 v14, 0xb94e, v11
	v_mul_f16_e32 v11, 0xb3a8, v11
	;; [unrolled: 1-line block ×6, first 2 shown]
	v_fma_f16 v21, v17, s14, -v20
	v_fma_f16 v23, v18, s14, v22
	v_fma_f16 v20, v17, s14, v20
	v_fma_f16 v22, v18, s14, -v22
	v_fma_f16 v25, v17, s13, -v24
	v_fma_f16 v24, v17, s13, v24
	v_fma_f16 v28, v17, s12, -v27
	v_fma_f16 v27, v17, s12, v27
	;; [unrolled: 2-line block ×5, first 2 shown]
	v_fma_f16 v17, v18, s13, v26
	v_fma_f16 v26, v18, s13, -v26
	v_fma_f16 v45, v18, s12, v44
	v_fma_f16 v44, v18, s12, -v44
	;; [unrolled: 2-line block ×5, first 2 shown]
	v_add_f16_e32 v9, v9, v7
	v_add_f16_sdwa v7, v16, v7 dst_sel:DWORD dst_unused:UNUSED_PAD src0_sel:DWORD src1_sel:WORD_1
	v_mul_f16_e32 v16, 0xba95, v12
	v_add_f16_e32 v19, v10, v21
	v_add_f16_sdwa v21, v10, v23 dst_sel:DWORD dst_unused:UNUSED_PAD src0_sel:WORD_1 src1_sel:DWORD
	v_add_f16_e32 v20, v10, v20
	v_add_f16_sdwa v22, v10, v22 dst_sel:DWORD dst_unused:UNUSED_PAD src0_sel:WORD_1 src1_sel:DWORD
	;; [unrolled: 2-line block ×12, first 2 shown]
	v_fma_f16 v18, v31, s13, -v16
	v_add_f16_e32 v18, v18, v19
	v_mul_f16_e32 v19, 0xba95, v39
	v_fma_f16 v16, v31, s13, v16
	v_fma_f16 v50, v38, s13, v19
	v_add_f16_e32 v16, v16, v20
	v_fma_f16 v19, v38, s13, -v19
	v_mul_f16_e32 v20, 0xbb7b, v12
	v_add_f16_e32 v19, v19, v22
	v_fma_f16 v22, v31, s15, -v20
	v_add_f16_e32 v22, v22, v23
	v_mul_f16_e32 v23, 0xbb7b, v39
	v_fma_f16 v20, v31, s15, v20
	v_add_f16_e32 v21, v50, v21
	v_fma_f16 v50, v38, s15, v23
	v_add_f16_e32 v20, v20, v24
	v_fma_f16 v23, v38, s15, -v23
	v_mul_f16_e32 v24, 0xb3a8, v12
	v_add_f16_e32 v23, v23, v25
	v_fma_f16 v25, v31, s17, -v24
	v_add_f16_e32 v25, v25, v26
	v_mul_f16_e32 v26, 0xb3a8, v39
	v_fma_f16 v24, v31, s17, v24
	v_add_f16_e32 v17, v50, v17
	;; [unrolled: 10-line block ×3, first 2 shown]
	v_fma_f16 v50, v38, s16, v44
	v_add_f16_e32 v27, v27, v29
	v_fma_f16 v29, v38, s16, -v44
	v_mul_f16_e32 v44, 0x3bf1, v12
	v_add_f16_e32 v29, v29, v46
	v_fma_f16 v46, v31, s12, -v44
	v_add_f16_e32 v42, v46, v42
	v_mul_f16_e32 v46, 0x3bf1, v39
	v_fma_f16 v44, v31, s12, v44
	v_mul_f16_e32 v12, 0x3770, v12
	v_add_f16_e32 v45, v50, v45
	v_fma_f16 v50, v38, s12, v46
	v_add_f16_e32 v14, v44, v14
	v_fma_f16 v44, v38, s12, -v46
	v_fma_f16 v46, v31, s14, -v12
	v_mul_f16_e32 v39, 0x3770, v39
	v_fma_f16 v12, v31, s14, v12
	v_add_f16_e32 v11, v12, v11
	v_fma_f16 v12, v38, s14, -v39
	v_add_f16_e32 v10, v12, v10
	v_mul_f16_e32 v12, 0xbbf1, v13
	v_fma_f16 v31, v15, s12, -v12
	v_add_f16_e32 v18, v31, v18
	v_mul_f16_e32 v31, 0xbbf1, v41
	v_fma_f16 v12, v15, s12, v12
	v_add_f16_e32 v12, v12, v16
	v_fma_f16 v16, v40, s12, -v31
	v_add_f16_e32 v16, v16, v19
	v_mul_f16_e32 v19, 0xb3a8, v13
	v_add_f16_e32 v43, v46, v43
	v_fma_f16 v46, v38, s14, v39
	v_fma_f16 v38, v40, s12, v31
	v_fma_f16 v31, v15, s17, -v19
	v_add_f16_e32 v22, v31, v22
	v_mul_f16_e32 v31, 0xb3a8, v41
	v_fma_f16 v19, v15, s17, v19
	v_add_f16_e32 v19, v19, v20
	v_fma_f16 v20, v40, s17, -v31
	v_add_f16_e32 v20, v20, v23
	v_mul_f16_e32 v23, 0x3b7b, v13
	v_add_f16_e32 v21, v38, v21
	v_fma_f16 v38, v40, s17, v31
	v_fma_f16 v31, v15, s15, -v23
	v_add_f16_e32 v25, v31, v25
	v_mul_f16_e32 v31, 0x3b7b, v41
	v_fma_f16 v23, v15, s15, v23
	v_add_f16_e32 v23, v23, v24
	v_fma_f16 v24, v40, s15, -v31
	v_add_f16_e32 v24, v24, v26
	v_mul_f16_e32 v26, 0x3770, v13
	v_add_f16_e32 v17, v38, v17
	;; [unrolled: 10-line block ×3, first 2 shown]
	v_fma_f16 v38, v40, s14, v31
	v_fma_f16 v31, v15, s13, -v29
	v_mul_f16_e32 v39, 0xba95, v41
	v_fma_f16 v29, v15, s13, v29
	v_mul_f16_e32 v13, 0xb94e, v13
	v_add_f16_e32 v31, v31, v42
	v_fma_f16 v42, v40, s13, v39
	v_add_f16_e32 v14, v29, v14
	v_fma_f16 v29, v40, s13, -v39
	v_fma_f16 v39, v15, s16, -v13
	v_mul_f16_e32 v41, 0xb94e, v41
	v_fma_f16 v13, v15, s16, v13
	v_add_f16_e32 v39, v39, v43
	v_fma_f16 v43, v40, s16, v41
	v_add_f16_e32 v11, v13, v11
	v_fma_f16 v13, v40, s16, -v41
	v_sub_f16_sdwa v40, v2, v5 dst_sel:DWORD dst_unused:UNUSED_PAD src0_sel:WORD_1 src1_sel:WORD_1
	v_add_f16_e32 v44, v44, v48
	v_add_f16_e32 v10, v13, v10
	;; [unrolled: 1-line block ×3, first 2 shown]
	v_add_f16_sdwa v15, v5, v2 dst_sel:DWORD dst_unused:UNUSED_PAD src0_sel:WORD_1 src1_sel:WORD_1
	v_mul_f16_e32 v41, 0xbb7b, v40
	v_sub_f16_e32 v2, v2, v5
	v_add_f16_e32 v29, v29, v44
	v_fma_f16 v44, v13, s15, -v41
	v_mul_f16_e32 v5, 0xbb7b, v2
	v_add_f16_e32 v18, v44, v18
	v_fma_f16 v44, v15, s15, v5
	v_fma_f16 v5, v15, s15, -v5
	v_fma_f16 v41, v13, s15, v41
	v_add_f16_e32 v5, v5, v16
	v_mul_f16_e32 v16, 0x394e, v40
	v_add_f16_e32 v12, v41, v12
	v_fma_f16 v41, v13, s16, -v16
	v_add_f16_e32 v22, v41, v22
	v_mul_f16_e32 v41, 0x394e, v2
	v_fma_f16 v16, v13, s16, v16
	v_add_f16_e32 v16, v16, v19
	v_fma_f16 v19, v15, s16, -v41
	v_add_f16_e32 v19, v19, v20
	v_mul_f16_e32 v20, 0x3770, v40
	v_add_f16_e32 v21, v44, v21
	v_fma_f16 v44, v15, s16, v41
	v_fma_f16 v41, v13, s14, -v20
	v_add_f16_e32 v25, v41, v25
	v_mul_f16_e32 v41, 0x3770, v2
	v_fma_f16 v20, v13, s14, v20
	v_add_f16_e32 v20, v20, v23
	v_fma_f16 v23, v15, s14, -v41
	v_add_f16_e32 v23, v23, v24
	v_mul_f16_e32 v24, 0xbbf1, v40
	v_add_f16_e32 v17, v44, v17
	v_fma_f16 v44, v15, s14, v41
	v_fma_f16 v41, v13, s12, -v24
	v_add_f16_e32 v30, v41, v30
	v_mul_f16_e32 v41, 0xbbf1, v2
	v_fma_f16 v24, v13, s12, v24
	v_add_f16_e32 v24, v24, v26
	v_fma_f16 v26, v15, s12, -v41
	v_add_f16_e32 v26, v26, v27
	v_mul_f16_e32 v27, 0x33a8, v40
	v_add_f16_e32 v28, v44, v28
	v_fma_f16 v44, v15, s12, v41
	v_fma_f16 v41, v13, s17, -v27
	v_add_f16_e32 v31, v41, v31
	v_mul_f16_e32 v41, 0x33a8, v2
	v_fma_f16 v27, v13, s17, v27
	v_add_f16_e32 v14, v27, v14
	v_fma_f16 v27, v15, s17, -v41
	v_add_f16_e32 v27, v27, v29
	v_mul_f16_e32 v29, 0x3a95, v40
	v_fma_f16 v40, v13, s13, -v29
	v_mul_f16_e32 v2, 0x3a95, v2
	v_add_f16_e32 v38, v38, v45
	v_add_f16_e32 v39, v40, v39
	v_fma_f16 v40, v15, s13, v2
	v_fma_f16 v13, v13, s13, v29
	v_fma_f16 v2, v15, s13, -v2
	v_add_f16_e32 v38, v44, v38
	v_fma_f16 v44, v15, s17, v41
	v_add_f16_e32 v11, v13, v11
	v_add_f16_e32 v2, v2, v10
	;; [unrolled: 1-line block ×3, first 2 shown]
	v_add_f16_sdwa v13, v4, v3 dst_sel:DWORD dst_unused:UNUSED_PAD src0_sel:WORD_1 src1_sel:WORD_1
	v_sub_f16_e32 v15, v3, v4
	v_sub_f16_sdwa v3, v3, v4 dst_sel:DWORD dst_unused:UNUSED_PAD src0_sel:WORD_1 src1_sel:WORD_1
	v_mul_f16_e32 v4, 0xb94e, v3
	v_fma_f16 v29, v10, s16, -v4
	v_add_f16_e32 v18, v29, v18
	v_mul_f16_e32 v29, 0xb94e, v15
	v_fma_f16 v4, v10, s16, v4
	v_add_f16_e32 v4, v4, v12
	v_fma_f16 v12, v13, s16, -v29
	v_add_f16_e32 v5, v12, v5
	v_mul_f16_e32 v12, 0x3bf1, v3
	v_fma_f16 v41, v13, s16, v29
	v_fma_f16 v29, v10, s12, -v12
	v_add_f16_e32 v22, v29, v22
	v_mul_f16_e32 v29, 0x3bf1, v15
	v_fma_f16 v12, v10, s12, v12
	v_add_f16_e32 v12, v12, v16
	v_fma_f16 v16, v13, s12, -v29
	v_add_f16_e32 v16, v16, v19
	v_mul_f16_e32 v19, 0xba95, v3
	v_add_f16_e32 v21, v41, v21
	v_fma_f16 v41, v13, s12, v29
	v_fma_f16 v29, v10, s13, -v19
	v_add_f16_e32 v25, v29, v25
	v_mul_f16_e32 v29, 0xba95, v15
	v_fma_f16 v19, v10, s13, v19
	v_add_f16_e32 v19, v19, v20
	v_fma_f16 v20, v13, s13, -v29
	v_add_f16_e32 v20, v20, v23
	v_mul_f16_e32 v23, 0x33a8, v3
	v_add_f16_e32 v17, v41, v17
	;; [unrolled: 10-line block ×3, first 2 shown]
	v_fma_f16 v41, v13, s17, v30
	v_fma_f16 v30, v10, s14, -v26
	v_add_f16_e32 v30, v30, v31
	v_mul_f16_e32 v31, 0x3770, v15
	v_fma_f16 v26, v10, s14, v26
	v_add_f16_e32 v14, v26, v14
	v_fma_f16 v26, v13, s14, -v31
	v_mul_f16_e32 v3, 0xbb7b, v3
	v_mul_f16_e32 v15, 0xbb7b, v15
	v_add_f16_e32 v26, v26, v27
	v_fma_f16 v27, v10, s15, -v3
	v_fma_f16 v3, v10, s15, v3
	v_fma_f16 v10, v13, s15, -v15
	v_add_f16_e32 v38, v41, v38
	v_fma_f16 v41, v13, s14, v31
	v_fma_f16 v31, v13, s15, v15
	v_add_f16_e32 v3, v3, v11
	v_add_f16_e32 v2, v10, v2
	;; [unrolled: 1-line block ×3, first 2 shown]
	v_add_f16_sdwa v11, v1, v0 dst_sel:DWORD dst_unused:UNUSED_PAD src0_sel:WORD_1 src1_sel:WORD_1
	v_sub_f16_e32 v13, v0, v1
	v_sub_f16_sdwa v1, v0, v1 dst_sel:DWORD dst_unused:UNUSED_PAD src0_sel:WORD_1 src1_sel:WORD_1
	v_mul_f16_e32 v0, 0xb3a8, v1
	v_fma_f16 v15, v10, s17, -v0
	v_add_f16_e32 v15, v15, v18
	v_mul_f16_e32 v18, 0xb3a8, v13
	v_fma_f16 v0, v10, s17, v0
	v_add_f16_e32 v0, v0, v4
	v_fma_f16 v4, v11, s17, -v18
	v_add_f16_e32 v47, v50, v47
	v_add_f16_e32 v50, v4, v5
	v_mul_f16_e32 v4, 0x3770, v1
	v_add_f16_e32 v27, v27, v39
	v_fma_f16 v39, v11, s17, v18
	v_fma_f16 v5, v10, s14, -v4
	v_mul_f16_e32 v18, 0x3770, v13
	v_fma_f16 v4, v10, s14, v4
	v_add_f16_e32 v4, v4, v12
	v_fma_f16 v12, v11, s14, -v18
	v_add_f16_e32 v5, v5, v22
	v_fma_f16 v22, v11, s14, v18
	v_add_f16_e32 v12, v12, v16
	v_mul_f16_e32 v16, 0xb94e, v1
	v_add_f16_e32 v17, v22, v17
	v_fma_f16 v18, v10, s16, -v16
	v_mul_f16_e32 v22, 0xb94e, v13
	v_fma_f16 v16, v10, s16, v16
	v_add_f16_e32 v16, v16, v19
	v_fma_f16 v19, v11, s16, -v22
	v_add_f16_e32 v18, v18, v25
	v_fma_f16 v25, v11, s16, v22
	v_add_f16_e32 v20, v19, v20
	v_mul_f16_e32 v19, 0x3a95, v1
	v_add_f16_e32 v25, v25, v28
	v_fma_f16 v22, v10, s13, -v19
	v_mul_f16_e32 v28, 0x3a95, v13
	v_fma_f16 v19, v10, s13, v19
	v_add_f16_e32 v23, v19, v23
	v_fma_f16 v19, v11, s13, -v28
	v_add_f16_e32 v24, v19, v24
	v_mul_f16_e32 v19, 0xbb7b, v1
	v_add_f16_e32 v22, v22, v29
	v_fma_f16 v29, v11, s13, v28
	v_fma_f16 v28, v10, s15, -v19
	v_add_f16_e32 v46, v46, v49
	v_add_f16_e32 v28, v28, v30
	v_mul_f16_e32 v30, 0xbb7b, v13
	v_fma_f16 v19, v10, s15, v19
	v_add_f16_e32 v43, v43, v46
	v_add_f16_e32 v14, v19, v14
	v_fma_f16 v19, v11, s15, -v30
	v_mul_f16_e32 v1, 0x3bf1, v1
	v_add_f16_e32 v40, v40, v43
	v_add_f16_e32 v26, v19, v26
	v_fma_f16 v19, v10, s12, -v1
	v_mul_f16_e32 v13, 0x3bf1, v13
	v_fma_f16 v1, v10, s12, v1
	v_add_f16_e32 v31, v31, v40
	v_add_f16_e32 v27, v19, v27
	v_fma_f16 v19, v11, s12, v13
	v_add_f16_e32 v1, v1, v3
	v_fma_f16 v3, v11, s12, -v13
	v_add_f16_e32 v42, v42, v47
	v_add_f16_e32 v29, v29, v38
	v_fma_f16 v38, v11, s15, v30
	v_add_f16_e32 v30, v19, v31
	v_add_f16_e32 v2, v3, v2
	v_mul_lo_u16_e32 v3, 13, v32
	v_add_f16_e32 v42, v44, v42
	v_add_f16_e32 v21, v39, v21
	v_lshl_add_u32 v19, v3, 2, v66
	v_pack_b32_f16 v1, v1, v2
	v_pack_b32_f16 v2, v27, v30
	v_add_f16_e32 v41, v41, v42
	s_barrier
	v_pack_b32_f16 v3, v15, v21
	v_pack_b32_f16 v7, v9, v7
	ds_write2_b32 v19, v2, v1 offset0:6 offset1:7
	v_pack_b32_f16 v1, v23, v24
	v_pack_b32_f16 v2, v14, v26
	v_add_f16_e32 v38, v38, v41
	ds_write2_b32 v19, v7, v3 offset1:1
	v_pack_b32_f16 v3, v18, v25
	v_pack_b32_f16 v5, v5, v17
	ds_write2_b32 v19, v2, v1 offset0:8 offset1:9
	v_pack_b32_f16 v1, v4, v12
	v_pack_b32_f16 v2, v16, v20
	ds_write2_b32 v19, v5, v3 offset0:2 offset1:3
	;; [unrolled: 3-line block ×3, first 2 shown]
	v_pack_b32_f16 v1, v0, v50
	ds_write2_b32 v19, v5, v3 offset0:4 offset1:5
	ds_write_b32 v19, v1 offset:48
	s_waitcnt lgkmcnt(0)
	s_barrier
	ds_read2_b32 v[4:5], v54 offset1:68
	ds_read2_b32 v[2:3], v54 offset0:136 offset1:221
	ds_read2_b32 v[14:15], v8 offset0:186 offset1:254
	;; [unrolled: 1-line block ×4, first 2 shown]
	v_add_u32_e32 v1, 0xa00, v54
	ds_read2_b32 v[10:11], v1 offset0:91 offset1:159
                                        ; implicit-def: $vgpr13
                                        ; implicit-def: $vgpr23
                                        ; implicit-def: $vgpr27
                                        ; implicit-def: $vgpr31
	s_and_saveexec_b64 s[0:1], vcc
	s_cbranch_execz .LBB0_3
; %bb.2:
	v_add_u32_e32 v0, 0x300, v54
	ds_read2_b32 v[12:13], v1 offset0:6 offset1:227
	ds_read2_b32 v[0:1], v0 offset0:12 offset1:233
	s_waitcnt lgkmcnt(1)
	v_lshrrev_b32_e32 v27, 16, v12
	s_waitcnt lgkmcnt(0)
	v_lshrrev_b32_e32 v50, 16, v0
	v_lshrrev_b32_e32 v31, 16, v1
	;; [unrolled: 1-line block ×3, first 2 shown]
.LBB0_3:
	s_or_b64 exec, exec, s[0:1]
	s_movk_i32 s12, 0x4f
	v_mul_lo_u16_sdwa v16, v32, s12 dst_sel:DWORD dst_unused:UNUSED_PAD src0_sel:BYTE_0 src1_sel:DWORD
	v_lshrrev_b16_e32 v69, 10, v16
	v_mul_lo_u16_e32 v16, 13, v69
	v_sub_u16_e32 v16, v32, v16
	v_and_b32_e32 v70, 0xff, v16
	v_add_u16_e32 v16, 0x44, v32
	v_mul_lo_u16_sdwa v17, v16, s12 dst_sel:DWORD dst_unused:UNUSED_PAD src0_sel:BYTE_0 src1_sel:DWORD
	v_lshrrev_b16_e32 v71, 10, v17
	v_mul_lo_u16_e32 v17, 13, v71
	v_sub_u16_e32 v16, v16, v17
	v_mad_u64_u32 v[24:25], s[0:1], v70, 12, s[10:11]
	v_and_b32_e32 v73, 0xff, v16
	v_mad_u64_u32 v[28:29], s[0:1], v73, 12, s[10:11]
	global_load_dwordx3 v[20:22], v[24:25], off
	global_load_dwordx3 v[16:18], v[28:29], off
	v_add_u16_e32 v24, 0x88, v32
	v_mul_lo_u16_sdwa v25, v24, s12 dst_sel:DWORD dst_unused:UNUSED_PAD src0_sel:BYTE_0 src1_sel:DWORD
	v_lshrrev_b16_e32 v74, 10, v25
	v_mul_lo_u16_e32 v25, 13, v74
	v_sub_u16_e32 v24, v24, v25
	v_add_u16_e32 v26, 0xcc, v32
	v_and_b32_e32 v80, 0xff, v24
	v_mul_u32_u24_e32 v28, 0x4ec5, v26
	v_mad_u64_u32 v[24:25], s[0:1], v80, 12, s[10:11]
	v_lshrrev_b32_e32 v171, 18, v28
	global_load_dwordx3 v[28:30], v[24:25], off
	v_mul_lo_u16_e32 v24, 13, v171
	v_sub_u16_e32 v172, v26, v24
	v_mul_lo_u16_e32 v24, 12, v172
	v_mov_b32_e32 v25, 0
	v_lshl_add_u64 v[24:25], s[10:11], 0, v[24:25]
	global_load_dwordx3 v[24:26], v[24:25], off
	s_waitcnt lgkmcnt(4)
	v_lshrrev_b32_e32 v39, 16, v3
	s_waitcnt lgkmcnt(3)
	v_lshrrev_b32_e32 v40, 16, v14
	;; [unrolled: 2-line block ×3, first 2 shown]
	v_lshrrev_b32_e32 v38, 16, v4
	s_waitcnt lgkmcnt(1)
	v_lshrrev_b32_e32 v43, 16, v8
	v_lshrrev_b32_e32 v44, 16, v15
	s_waitcnt lgkmcnt(0)
	v_lshrrev_b32_e32 v45, 16, v10
	v_lshrrev_b32_e32 v42, 16, v5
	;; [unrolled: 1-line block ×6, first 2 shown]
	s_barrier
	s_waitcnt vmcnt(3)
	v_mul_f16_sdwa v51, v39, v20 dst_sel:DWORD dst_unused:UNUSED_PAD src0_sel:DWORD src1_sel:WORD_1
	v_mul_f16_sdwa v52, v3, v20 dst_sel:DWORD dst_unused:UNUSED_PAD src0_sel:DWORD src1_sel:WORD_1
	;; [unrolled: 1-line block ×6, first 2 shown]
	v_fma_f16 v14, v14, v21, -v53
	v_fma_f16 v39, v39, v20, v52
	v_fma_f16 v3, v3, v20, -v51
	v_fma_f16 v7, v7, v22, -v75
	v_fma_f16 v40, v40, v21, v72
	v_fma_f16 v41, v41, v22, v76
	v_sub_f16_e32 v14, v4, v14
	v_sub_f16_e32 v7, v3, v7
	s_waitcnt vmcnt(2)
	v_mul_f16_sdwa v78, v8, v16 dst_sel:DWORD dst_unused:UNUSED_PAD src0_sel:DWORD src1_sel:WORD_1
	v_mul_f16_sdwa v81, v15, v17 dst_sel:DWORD dst_unused:UNUSED_PAD src0_sel:DWORD src1_sel:WORD_1
	;; [unrolled: 1-line block ×3, first 2 shown]
	v_sub_f16_e32 v72, v38, v40
	v_fma_f16 v4, v4, 2.0, -v14
	s_waitcnt vmcnt(0)
	v_mul_f16_sdwa v92, v27, v25 dst_sel:DWORD dst_unused:UNUSED_PAD src0_sel:DWORD src1_sel:WORD_1
	v_fma_f16 v52, v12, v25, -v92
	v_mul_f16_sdwa v12, v12, v25 dst_sel:DWORD dst_unused:UNUSED_PAD src0_sel:DWORD src1_sel:WORD_1
	v_mul_f16_sdwa v91, v1, v24 dst_sel:DWORD dst_unused:UNUSED_PAD src0_sel:DWORD src1_sel:WORD_1
	v_fma_f16 v12, v27, v25, v12
	v_mul_f16_sdwa v27, v23, v26 dst_sel:DWORD dst_unused:UNUSED_PAD src0_sel:DWORD src1_sel:WORD_1
	v_mul_f16_sdwa v90, v31, v24 dst_sel:DWORD dst_unused:UNUSED_PAD src0_sel:DWORD src1_sel:WORD_1
	v_fma_f16 v51, v31, v24, v91
	v_fma_f16 v53, v13, v26, -v27
	v_mul_f16_sdwa v13, v13, v26 dst_sel:DWORD dst_unused:UNUSED_PAD src0_sel:DWORD src1_sel:WORD_1
	v_sub_f16_e32 v31, v39, v41
	v_fma_f16 v3, v3, 2.0, -v7
	v_mul_f16_sdwa v77, v43, v16 dst_sel:DWORD dst_unused:UNUSED_PAD src0_sel:DWORD src1_sel:WORD_1
	v_mul_f16_sdwa v79, v44, v17 dst_sel:DWORD dst_unused:UNUSED_PAD src0_sel:DWORD src1_sel:WORD_1
	;; [unrolled: 1-line block ×3, first 2 shown]
	v_fma_f16 v43, v43, v16, v78
	v_fma_f16 v44, v44, v17, v81
	;; [unrolled: 1-line block ×4, first 2 shown]
	v_fma_f16 v23, v38, 2.0, -v72
	v_fma_f16 v27, v39, 2.0, -v31
	v_sub_f16_e32 v38, v4, v3
	v_sub_f16_e32 v39, v14, v31
	v_fma_f16 v15, v15, v17, -v79
	v_fma_f16 v8, v8, v16, -v77
	;; [unrolled: 1-line block ×3, first 2 shown]
	v_fma_f16 v40, v4, 2.0, -v38
	v_fma_f16 v41, v14, 2.0, -v39
	v_sub_f16_e32 v4, v42, v44
	v_sub_f16_e32 v14, v43, v45
	v_mul_f16_sdwa v84, v47, v28 dst_sel:DWORD dst_unused:UNUSED_PAD src0_sel:DWORD src1_sel:WORD_1
	v_mul_f16_sdwa v85, v9, v28 dst_sel:DWORD dst_unused:UNUSED_PAD src0_sel:DWORD src1_sel:WORD_1
	;; [unrolled: 1-line block ×6, first 2 shown]
	v_add_f16_e32 v31, v72, v7
	v_sub_f16_e32 v3, v5, v15
	v_fma_f16 v7, v42, 2.0, -v4
	v_sub_f16_e32 v10, v8, v10
	v_fma_f16 v15, v43, 2.0, -v14
	v_fma_f16 v9, v9, v28, -v84
	v_fma_f16 v47, v47, v28, v85
	v_fma_f16 v6, v6, v29, -v86
	v_fma_f16 v48, v48, v29, v87
	;; [unrolled: 2-line block ×3, first 2 shown]
	v_fma_f16 v5, v5, 2.0, -v3
	v_fma_f16 v8, v8, 2.0, -v10
	v_sub_f16_e32 v77, v7, v15
	v_sub_f16_e32 v45, v3, v14
	v_add_f16_e32 v78, v4, v10
	v_sub_f16_e32 v44, v5, v8
	v_fma_f16 v75, v7, 2.0, -v77
	v_fma_f16 v43, v3, 2.0, -v45
	;; [unrolled: 1-line block ×3, first 2 shown]
	v_sub_f16_e32 v3, v2, v6
	v_sub_f16_e32 v4, v46, v48
	;; [unrolled: 1-line block ×4, first 2 shown]
	v_fma_f16 v42, v5, 2.0, -v44
	v_fma_f16 v2, v2, 2.0, -v3
	;; [unrolled: 1-line block ×5, first 2 shown]
	v_fma_f16 v1, v1, v24, -v90
	v_sub_f16_e32 v48, v2, v8
	v_sub_f16_e32 v79, v5, v9
	v_fma_f16 v46, v2, 2.0, -v48
	v_fma_f16 v81, v5, 2.0, -v79
	v_sub_f16_e32 v2, v0, v52
	v_sub_f16_e32 v5, v1, v53
	;; [unrolled: 1-line block ×3, first 2 shown]
	v_fma_f16 v0, v0, 2.0, -v2
	v_fma_f16 v1, v1, 2.0, -v5
	v_add_f16_e32 v92, v4, v6
	v_fma_f16 v47, v3, 2.0, -v49
	v_sub_f16_e32 v3, v50, v12
	v_sub_f16_e32 v52, v0, v1
	;; [unrolled: 1-line block ×3, first 2 shown]
	v_fma_f16 v90, v4, 2.0, -v92
	v_fma_f16 v4, v50, 2.0, -v3
	;; [unrolled: 1-line block ×3, first 2 shown]
	v_mul_u32_u24_e32 v0, 52, v69
	v_fma_f16 v23, v23, 2.0, -v27
	v_fma_f16 v72, v72, 2.0, -v31
	v_add_u32_e32 v0, v0, v70
	v_lshl_add_u32 v173, v0, 2, v66
	v_pack_b32_f16 v0, v40, v23
	v_pack_b32_f16 v1, v41, v72
	ds_write2_b32 v173, v0, v1 offset1:13
	v_pack_b32_f16 v0, v38, v27
	v_pack_b32_f16 v1, v39, v31
	ds_write2_b32 v173, v0, v1 offset0:26 offset1:39
	v_mul_u32_u24_e32 v0, 52, v71
	v_add_u32_e32 v0, v0, v73
	v_lshl_add_u32 v70, v0, 2, v66
	v_pack_b32_f16 v0, v42, v75
	v_pack_b32_f16 v1, v43, v76
	ds_write2_b32 v70, v0, v1 offset1:13
	v_pack_b32_f16 v0, v44, v77
	v_pack_b32_f16 v1, v45, v78
	v_sub_f16_e32 v6, v51, v13
	ds_write2_b32 v70, v0, v1 offset0:26 offset1:39
	v_mul_u32_u24_e32 v0, 52, v74
	v_fma_f16 v7, v51, 2.0, -v6
	v_add_u32_e32 v0, v0, v80
	v_sub_f16_e32 v95, v4, v7
	v_sub_f16_e32 v53, v2, v6
	v_add_f16_e32 v96, v3, v5
	v_lshl_add_u32 v71, v0, 2, v66
	v_pack_b32_f16 v0, v46, v81
	v_pack_b32_f16 v1, v47, v90
	v_fma_f16 v93, v4, 2.0, -v95
	v_fma_f16 v51, v2, 2.0, -v53
	;; [unrolled: 1-line block ×3, first 2 shown]
	ds_write2_b32 v71, v0, v1 offset1:13
	v_pack_b32_f16 v0, v48, v79
	v_pack_b32_f16 v1, v49, v92
	ds_write2_b32 v71, v0, v1 offset0:26 offset1:39
	s_and_saveexec_b64 s[0:1], vcc
	s_cbranch_execz .LBB0_5
; %bb.4:
	v_mad_legacy_u16 v0, v171, 52, v172
	s_mov_b32 s12, 0x5040100
	v_lshl_add_u32 v0, v0, 2, v66
	v_perm_b32 v1, v93, v50, s12
	v_perm_b32 v2, v94, v51, s12
	ds_write2_b32 v0, v1, v2 offset1:13
	v_perm_b32 v1, v95, v52, s12
	v_perm_b32 v2, v96, v53, s12
	ds_write2_b32 v0, v1, v2 offset0:26 offset1:39
.LBB0_5:
	s_or_b64 exec, exec, s[0:1]
	v_cmp_gt_u16_e64 s[0:1], 52, v32
	s_waitcnt lgkmcnt(0)
	s_barrier
	s_waitcnt lgkmcnt(0)
                                        ; implicit-def: $vgpr97
                                        ; implicit-def: $vgpr98
	s_and_saveexec_b64 s[12:13], s[0:1]
	s_cbranch_execz .LBB0_7
; %bb.6:
	v_add_u32_e32 v0, 0x200, v54
	ds_read2_b32 v[40:41], v54 offset1:52
	ds_read2_b32 v[38:39], v54 offset0:104 offset1:156
	ds_read2_b32 v[42:43], v0 offset0:80 offset1:132
	v_add_u32_e32 v0, 0x400, v54
	ds_read2_b32 v[44:45], v0 offset0:56 offset1:108
	ds_read2_b32 v[46:47], v0 offset0:160 offset1:212
	v_add_u32_e32 v0, 0x800, v54
	;; [unrolled: 3-line block ×3, first 2 shown]
	ds_read2_b32 v[52:53], v0 offset0:88 offset1:140
	ds_read_b32 v97, v54 offset:3328
	s_waitcnt lgkmcnt(8)
	v_lshrrev_b32_e32 v23, 16, v40
	v_lshrrev_b32_e32 v72, 16, v41
	s_waitcnt lgkmcnt(7)
	v_lshrrev_b32_e32 v27, 16, v38
	v_lshrrev_b32_e32 v31, 16, v39
	;; [unrolled: 3-line block ×8, first 2 shown]
	s_waitcnt lgkmcnt(0)
	v_lshrrev_b32_e32 v98, 16, v97
.LBB0_7:
	s_or_b64 exec, exec, s[12:13]
	s_movk_i32 s12, 0xfcc0
	v_lshlrev_b32_e32 v0, 4, v32
	v_mov_b32_e32 v1, 0
	s_mov_b32 s13, -1
	v_lshl_add_u64 v[2:3], v[0:1], 0, s[12:13]
	v_cndmask_b32_e64 v1, v3, 0, s[0:1]
	v_cndmask_b32_e64 v0, v2, v0, s[0:1]
	v_lshl_add_u64 v[82:83], v[0:1], 2, s[10:11]
	global_load_dwordx4 v[8:11], v[82:83], off offset:156
	global_load_dwordx4 v[0:3], v[82:83], off offset:172
	;; [unrolled: 1-line block ×4, first 2 shown]
	s_movk_i32 s14, 0x3722
	s_movk_i32 s15, 0x2de8
	s_mov_b32 s16, 0xb8d2
	s_mov_b32 s17, 0xbbdd
	;; [unrolled: 1-line block ×3, first 2 shown]
	s_movk_i32 s12, 0x3b76
	s_movk_i32 s13, 0x39e9
	s_mov_b32 s19, 0xbacd
	s_mov_b32 s20, 0xb5c8
	;; [unrolled: 1-line block ×7, first 2 shown]
	s_movk_i32 s36, 0x31e1
	s_movk_i32 s29, 0x3bb2
	;; [unrolled: 1-line block ×3, first 2 shown]
	s_mov_b32 s26, 0xbbb2
	s_movk_i32 s25, 0x3836
	s_movk_i32 s24, 0x3964
	s_mov_b32 s30, 0xb836
	s_movk_i32 s28, 0x3b29
	s_movk_i32 s33, 0x3a62
	s_waitcnt vmcnt(3)
	v_mul_f16_sdwa v73, v72, v8 dst_sel:DWORD dst_unused:UNUSED_PAD src0_sel:DWORD src1_sel:WORD_1
	v_mul_f16_sdwa v74, v41, v8 dst_sel:DWORD dst_unused:UNUSED_PAD src0_sel:DWORD src1_sel:WORD_1
	v_mul_f16_sdwa v85, v39, v10 dst_sel:DWORD dst_unused:UNUSED_PAD src0_sel:DWORD src1_sel:WORD_1
	s_waitcnt vmcnt(2)
	v_mul_f16_sdwa v88, v76, v0 dst_sel:DWORD dst_unused:UNUSED_PAD src0_sel:DWORD src1_sel:WORD_1
	v_mul_f16_sdwa v102, v81, v3 dst_sel:DWORD dst_unused:UNUSED_PAD src0_sel:DWORD src1_sel:WORD_1
	v_mul_f16_sdwa v103, v46, v3 dst_sel:DWORD dst_unused:UNUSED_PAD src0_sel:DWORD src1_sel:WORD_1
	;; [unrolled: 4-line block ×3, first 2 shown]
	v_mul_f16_sdwa v104, v90, v4 dst_sel:DWORD dst_unused:UNUSED_PAD src0_sel:DWORD src1_sel:WORD_1
	v_mul_f16_sdwa v105, v47, v4 dst_sel:DWORD dst_unused:UNUSED_PAD src0_sel:DWORD src1_sel:WORD_1
	;; [unrolled: 1-line block ×6, first 2 shown]
	v_fma_f16 v80, v41, v8, -v73
	v_fma_f16 v41, v72, v8, v74
	v_fma_f16 v74, v31, v10, v85
	v_fma_f16 v85, v43, v0, -v88
	v_fma_f16 v88, v46, v3, -v102
	v_fma_f16 v46, v81, v3, v103
	v_fma_f16 v81, v98, v15, v119
	v_mul_f16_sdwa v82, v27, v9 dst_sel:DWORD dst_unused:UNUSED_PAD src0_sel:DWORD src1_sel:WORD_1
	v_mul_f16_sdwa v87, v42, v11 dst_sel:DWORD dst_unused:UNUSED_PAD src0_sel:DWORD src1_sel:WORD_1
	;; [unrolled: 1-line block ×6, first 2 shown]
	v_fma_f16 v73, v27, v9, v83
	v_fma_f16 v76, v76, v0, v89
	v_fma_f16 v89, v47, v4, -v104
	v_fma_f16 v47, v90, v4, v105
	v_fma_f16 v90, v48, v5, -v106
	v_fma_f16 v48, v79, v5, v107
	v_fma_f16 v79, v96, v14, v117
	v_fma_f16 v96, v97, v15, -v118
	v_sub_f16_e32 v133, v41, v81
	v_mul_f16_sdwa v84, v31, v10 dst_sel:DWORD dst_unused:UNUSED_PAD src0_sel:DWORD src1_sel:WORD_1
	v_mul_f16_sdwa v86, v75, v11 dst_sel:DWORD dst_unused:UNUSED_PAD src0_sel:DWORD src1_sel:WORD_1
	;; [unrolled: 1-line block ×5, first 2 shown]
	v_fma_f16 v82, v38, v9, -v82
	v_fma_f16 v75, v75, v11, v87
	v_fma_f16 v87, v45, v2, -v100
	v_fma_f16 v45, v78, v2, v101
	v_fma_f16 v78, v95, v13, v115
	v_fma_f16 v95, v53, v14, -v116
	v_add_f16_e32 v102, v80, v96
	v_mul_f16_e32 v98, 0xbb29, v133
	v_sub_f16_e32 v137, v73, v79
	v_mul_f16_sdwa v113, v51, v12 dst_sel:DWORD dst_unused:UNUSED_PAD src0_sel:DWORD src1_sel:WORD_1
	v_fma_f16 v83, v39, v10, -v84
	v_fma_f16 v84, v42, v11, -v86
	;; [unrolled: 1-line block ×3, first 2 shown]
	v_fma_f16 v44, v77, v1, v99
	v_add_f16_e32 v103, v82, v95
	v_mul_f16_e32 v100, 0xbbf7, v133
	v_fma_f16 v27, v102, s14, v98
	v_mul_f16_e32 v99, 0xba62, v137
	v_mul_f16_sdwa v112, v94, v12 dst_sel:DWORD dst_unused:UNUSED_PAD src0_sel:DWORD src1_sel:WORD_1
	v_fma_f16 v77, v94, v12, v113
	v_fma_f16 v94, v52, v13, -v114
	v_fma_f16 v31, v102, s15, v100
	v_add_f16_e32 v27, v40, v27
	v_fma_f16 v38, v103, s16, v99
	v_mul_f16_e32 v104, 0xb1e1, v137
	v_sub_f16_e32 v147, v74, v78
	v_mul_f16_sdwa v108, v92, v6 dst_sel:DWORD dst_unused:UNUSED_PAD src0_sel:DWORD src1_sel:WORD_1
	v_mul_f16_sdwa v109, v49, v6 dst_sel:DWORD dst_unused:UNUSED_PAD src0_sel:DWORD src1_sel:WORD_1
	;; [unrolled: 1-line block ×4, first 2 shown]
	v_add_f16_e32 v31, v40, v31
	v_add_f16_e32 v27, v38, v27
	v_fma_f16 v38, v103, s17, v104
	v_add_f16_e32 v107, v83, v94
	v_mul_f16_e32 v101, 0x31e1, v147
	v_fma_f16 v91, v49, v6, -v108
	v_fma_f16 v49, v92, v6, v109
	v_fma_f16 v92, v50, v7, -v110
	v_fma_f16 v50, v93, v7, v111
	v_fma_f16 v93, v51, v12, -v112
	v_add_f16_e32 v31, v38, v31
	v_fma_f16 v38, v107, s17, v101
	v_mul_f16_e32 v106, 0x3bb2, v147
	v_sub_f16_e32 v158, v75, v77
	v_add_f16_e32 v27, v38, v27
	v_fma_f16 v38, v107, s18, v106
	v_add_f16_e32 v110, v84, v93
	v_mul_f16_e32 v105, 0x3bb2, v158
	v_add_f16_e32 v31, v38, v31
	v_fma_f16 v38, v110, s18, v105
	v_mul_f16_e32 v109, 0x35c8, v158
	v_sub_f16_e32 v166, v76, v50
	v_add_f16_e32 v27, v38, v27
	v_fma_f16 v38, v110, s12, v109
	v_add_f16_e32 v114, v85, v92
	v_mul_f16_e32 v108, 0x3964, v166
	;; [unrolled: 8-line block ×5, first 2 shown]
	v_add_f16_e32 v31, v38, v31
	v_fma_f16 v38, v135, s19, v121
	v_mul_f16_e32 v134, 0x3964, v188
	v_mul_f16_e32 v97, 0xb5c8, v133
	v_add_f16_e32 v39, v38, v27
	v_fma_f16 v27, v135, s13, v134
	v_add_f16_e32 v38, v27, v31
	v_fma_f16 v27, v102, s12, v97
	v_mul_f16_e32 v113, 0xb964, v137
	v_sub_f16_e32 v160, v80, v96
	v_add_f16_e32 v27, v40, v27
	v_fma_f16 v31, v103, s13, v113
	v_add_f16_e32 v190, v41, v81
	v_mul_f16_e32 v116, 0xb5c8, v160
	v_sub_f16_e32 v161, v82, v95
	v_add_f16_e32 v27, v31, v27
	v_fma_f16 v31, v190, s12, -v116
	v_add_f16_e32 v191, v73, v79
	v_mul_f16_e32 v118, 0xb964, v161
	v_add_f16_e32 v31, v23, v31
	v_fma_f16 v42, v191, s13, -v118
	v_mul_f16_e32 v122, 0xb964, v133
	v_add_f16_e32 v31, v42, v31
	v_fma_f16 v42, v102, s13, v122
	v_mul_f16_e32 v123, 0xbbf7, v137
	v_add_f16_e32 v42, v40, v42
	v_fma_f16 v43, v103, s15, v123
	v_mul_f16_e32 v128, 0xb964, v160
	v_add_f16_e32 v42, v43, v42
	v_fma_f16 v43, v190, s13, -v128
	v_mul_f16_e32 v129, 0xbbf7, v161
	v_add_f16_e32 v43, v23, v43
	v_fma_f16 v51, v191, s15, -v129
	;; [unrolled: 3-line block ×6, first 2 shown]
	v_mul_f16_e32 v120, 0xbb29, v147
	v_sub_f16_e32 v168, v83, v94
	v_add_f16_e32 v52, v53, v52
	v_fma_f16 v53, v107, s14, v120
	v_add_f16_e32 v195, v74, v78
	v_mul_f16_e32 v126, 0xbb29, v168
	v_add_f16_e32 v27, v53, v27
	v_fma_f16 v53, v195, s14, -v126
	v_mul_f16_e32 v132, 0xba62, v147
	v_add_f16_e32 v31, v53, v31
	v_fma_f16 v53, v107, s16, v132
	v_mul_f16_e32 v140, 0xba62, v168
	v_add_f16_e32 v42, v53, v42
	v_fma_f16 v53, v195, s16, -v140
	v_mul_f16_e32 v150, 0x31e1, v168
	v_add_f16_e32 v43, v53, v43
	v_fma_f16 v53, v195, s17, -v150
	v_mul_f16_e32 v162, 0x3bb2, v168
	v_add_f16_e32 v51, v53, v51
	v_fma_f16 v53, v195, s18, -v162
	v_mul_f16_e32 v125, 0xbbf7, v158
	v_sub_f16_e32 v177, v84, v93
	v_add_f16_e32 v52, v53, v52
	v_fma_f16 v53, v110, s15, v125
	v_add_f16_e32 v196, v75, v77
	v_mul_f16_e32 v131, 0xbbf7, v177
	v_add_f16_e32 v27, v53, v27
	v_fma_f16 v53, v196, s15, -v131
	v_mul_f16_e32 v139, 0xb1e1, v158
	v_add_f16_e32 v31, v53, v31
	v_fma_f16 v53, v110, s17, v139
	v_mul_f16_e32 v146, 0xb1e1, v177
	v_add_f16_e32 v42, v53, v42
	v_fma_f16 v53, v196, s17, -v146
	v_mul_f16_e32 v156, 0x3bb2, v177
	v_add_f16_e32 v43, v53, v43
	v_fma_f16 v53, v196, s18, -v156
	v_mul_f16_e32 v167, 0x35c8, v177
	v_add_f16_e32 v51, v53, v51
	v_fma_f16 v53, v196, s12, -v167
	;; [unrolled: 20-line block ×5, first 2 shown]
	v_mul_f16_e32 v148, 0xb1e1, v188
	v_sub_f16_e32 v189, v88, v89
	v_add_f16_e32 v72, v51, v52
	v_fma_f16 v51, v135, s17, v148
	v_add_f16_e32 v192, v46, v47
	v_mul_f16_e32 v155, 0xb1e1, v189
	v_add_f16_e32 v51, v51, v27
	v_fma_f16 v27, v192, s17, -v155
	v_mul_f16_e32 v164, 0x35c8, v188
	v_add_f16_e32 v52, v27, v31
	v_fma_f16 v27, v135, s12, v164
	v_mul_f16_e32 v182, 0xb836, v189
	v_add_f16_e32 v27, v27, v42
	v_mul_f16_e32 v170, 0x35c8, v189
	v_fma_f16 v42, v192, s19, -v182
	v_mul_f16_e32 v186, 0x3964, v189
	v_fma_f16 v31, v192, s12, -v170
	v_add_f16_e32 v53, v42, v53
	v_fma_f16 v42, v192, s13, -v186
	v_add_f16_e32 v31, v31, v43
	v_add_f16_e32 v72, v42, v72
	v_lshl_add_u64 v[42:43], s[8:9], 0, v[36:37]
	s_and_saveexec_b64 s[10:11], s[0:1]
	s_cbranch_execz .LBB0_9
; %bb.8:
	v_mul_f16_e32 v37, 0x3b76, v102
	v_accvgpr_write_b32 a3, v37
	v_mul_f16_e32 v37, 0x3b76, v190
	v_accvgpr_write_b32 a6, v37
	;; [unrolled: 2-line block ×16, first 2 shown]
	v_mul_f16_e32 v37, 0xb8d2, v195
	v_mul_f16_e32 v235, 0xb461, v190
	v_accvgpr_write_b32 a24, v37
	v_mul_f16_e32 v37, 0xbbdd, v107
	v_fma_f16 v175, v160, s29, v235
	v_mul_f16_e32 v236, 0xbacd, v191
	v_accvgpr_write_b32 a30, v37
	v_mul_f16_e32 v37, 0xbbdd, v195
	v_add_f16_e32 v175, v23, v175
	v_fma_f16 v237, v161, s30, v236
	v_accvgpr_write_b32 a36, v37
	v_mul_f16_e32 v37, 0x2de8, v110
	v_add_f16_e32 v175, v237, v175
	v_mul_f16_e32 v237, 0x39e9, v195
	v_accvgpr_write_b32 a7, v37
	v_mul_f16_e32 v37, 0x2de8, v196
	v_fma_f16 v238, v168, s27, v237
	v_accvgpr_write_b32 a14, v37
	v_mul_f16_e32 v37, 0xbbdd, v110
	v_add_f16_e32 v175, v238, v175
	v_mul_f16_e32 v238, 0x3722, v196
	v_accvgpr_write_b32 a21, v37
	v_mul_f16_e32 v37, 0xbbdd, v196
	;; [unrolled: 7-line block ×6, first 2 shown]
	v_fma_f16 v243, v189, s33, v242
	v_accvgpr_write_b32 a19, v37
	v_add_f16_e32 v37, v243, v175
	v_mul_f16_e32 v243, 0xbbb2, v133
	v_fma_f16 v244, v102, s18, v243
	v_mul_f16_e32 v245, 0x3836, v137
	v_add_f16_e32 v244, v40, v244
	v_fma_f16 v246, v103, s19, v245
	v_add_f16_e32 v244, v246, v244
	v_mul_f16_e32 v246, 0x3964, v147
	v_fma_f16 v247, v107, s13, v246
	v_add_f16_e32 v244, v247, v244
	v_mul_f16_e32 v247, 0xbb29, v158
	;; [unrolled: 3-line block ×6, first 2 shown]
	v_fma_f16 v252, v135, s16, v251
	v_accvgpr_write_b32 a8, v37
	v_add_f16_e32 v37, v252, v244
	v_mul_f16_e32 v252, 0xb8d2, v190
	v_fma_f16 v253, v160, s33, v252
	v_mul_f16_e32 v254, 0xb461, v191
	v_add_f16_e32 v253, v23, v253
	v_fma_f16 v255, v161, s26, v254
	v_add_f16_e32 v253, v255, v253
	v_mul_f16_e32 v255, 0x3b76, v195
	v_fma_f16 v67, v168, s35, v255
	v_add_f16_e32 v67, v67, v253
	v_mul_f16_e32 v253, 0xbacd, v196
	;; [unrolled: 3-line block ×3, first 2 shown]
	v_accvgpr_write_b32 a17, v37
	v_fma_f16 v37, v181, s31, v68
	v_add_f16_e32 v37, v37, v67
	v_mul_f16_e32 v67, 0x39e9, v194
	v_accvgpr_write_b32 a0, v171
	v_fma_f16 v171, v185, s24, v67
	v_add_f16_e32 v37, v171, v37
	v_mul_f16_e32 v171, 0xbbdd, v193
	;; [unrolled: 4-line block ×4, first 2 shown]
	v_fma_f16 v174, v102, s16, v173
	v_mul_f16_e32 v69, 0x3bb2, v137
	v_add_f16_e32 v174, v40, v174
	v_fma_f16 v175, v103, s18, v69
	v_add_f16_e32 v174, v175, v174
	v_mul_f16_e32 v175, 0xb5c8, v147
	v_fma_f16 v225, v107, s12, v175
	v_add_f16_e32 v174, v225, v174
	v_mul_f16_e32 v225, 0xb836, v158
	;; [unrolled: 3-line block ×6, first 2 shown]
	v_fma_f16 v205, v135, s14, v218
	v_accvgpr_write_b32 a26, v37
	v_add_f16_e32 v37, v205, v174
	v_mul_f16_e32 v205, 0xbacd, v190
	v_fma_f16 v226, v160, s25, v205
	v_mul_f16_e32 v204, 0x3722, v191
	v_add_f16_e32 v226, v23, v226
	v_fma_f16 v244, v161, s22, v204
	s_movk_i32 s34, 0x3bf7
	v_add_f16_e32 v226, v244, v226
	v_mul_f16_e32 v244, 0x2de8, v195
	v_fma_f16 v234, v168, s34, v244
	v_add_f16_e32 v226, v234, v226
	v_mul_f16_e32 v234, 0xb8d2, v196
	v_fma_f16 v199, v177, s21, v234
	;; [unrolled: 3-line block ×6, first 2 shown]
	v_add_f16_e32 v199, v213, v199
	v_mul_f16_e32 v213, 0xb836, v133
	v_accvgpr_write_b32 a35, v37
	v_fma_f16 v37, v102, s19, v213
	v_mul_f16_e32 v212, 0x3b29, v137
	v_add_f16_e32 v37, v40, v37
	v_fma_f16 v220, v103, s14, v212
	v_fma_f16 v205, v160, s30, v205
	v_add_f16_e32 v37, v220, v37
	v_mul_f16_e32 v220, 0xbbf7, v147
	v_add_f16_e32 v205, v23, v205
	v_fma_f16 v204, v161, s28, v204
	v_fma_f16 v207, v107, s15, v220
	v_add_f16_e32 v204, v204, v205
	v_fma_f16 v244, v168, s31, v244
	v_add_f16_e32 v37, v207, v37
	v_mul_f16_e32 v207, 0x3a62, v158
	v_add_f16_e32 v204, v244, v204
	v_fma_f16 v234, v177, s33, v234
	v_fma_f16 v228, v110, s16, v207
	v_add_f16_e32 v204, v234, v204
	;; [unrolled: 7-line block ×4, first 2 shown]
	v_fma_f16 v206, v102, s19, -v213
	v_add_f16_e32 v37, v201, v37
	v_mul_f16_e32 v201, 0x3964, v183
	v_add_f16_e32 v206, v40, v206
	v_fma_f16 v212, v103, s14, -v212
	v_fma_f16 v221, v127, s13, v201
	v_add_f16_e32 v206, v212, v206
	v_fma_f16 v212, v107, s15, -v220
	v_add_f16_e32 v37, v221, v37
	v_mul_f16_e32 v221, 0xbbb2, v188
	v_add_f16_e32 v206, v212, v206
	v_fma_f16 v207, v110, s16, -v207
	v_mul_f16_e32 v203, 0x2de8, v190
	v_fma_f16 v208, v135, s18, v221
	v_mul_f16_e32 v190, 0xbbdd, v190
	v_add_f16_e32 v206, v207, v206
	v_fma_f16 v207, v114, s12, -v228
	v_mul_f16_e32 v210, 0xbbdd, v191
	v_add_f16_e32 v37, v208, v37
	v_fma_f16 v208, v160, s36, v190
	v_mul_f16_e32 v191, 0x3b76, v191
	v_add_f16_e32 v206, v207, v206
	v_fma_f16 v207, v119, s17, -v214
	v_mul_f16_e32 v217, 0xb461, v195
	v_add_f16_e32 v208, v23, v208
	v_fma_f16 v174, v161, s20, v191
	v_mul_f16_e32 v195, 0xbacd, v195
	v_add_f16_e32 v206, v207, v206
	v_fma_f16 v201, v127, s13, -v201
	v_mul_f16_e32 v222, 0xb461, v196
	v_mul_f16_e32 v224, 0x3b76, v196
	v_add_f16_e32 v174, v174, v208
	v_fma_f16 v208, v168, s25, v195
	v_mul_f16_e32 v196, 0x39e9, v196
	v_add_f16_e32 v201, v201, v206
	v_fma_f16 v206, v135, s18, -v221
	v_mul_f16_e32 v230, 0x39e9, v197
	v_mul_f16_e32 v232, 0x3722, v197
	v_add_f16_e32 v174, v208, v174
	v_fma_f16 v208, v177, s27, v196
	v_mul_f16_e32 v197, 0xb8d2, v197
	v_add_f16_e32 v201, v206, v201
	v_fma_f16 v206, v160, s21, v252
	v_add_f16_e32 v174, v208, v174
	v_fma_f16 v208, v181, s33, v197
	;; [unrolled: 2-line block ×3, first 2 shown]
	v_add_f16_e32 v174, v208, v174
	v_mul_f16_e32 v208, 0x3722, v194
	v_add_f16_e32 v206, v207, v206
	v_fma_f16 v207, v168, s20, v255
	v_fma_f16 v229, v185, s22, v208
	v_add_f16_e32 v206, v207, v206
	v_fma_f16 v207, v177, s30, v253
	v_add_f16_e32 v174, v229, v174
	v_mul_f16_e32 v229, 0xb461, v193
	v_add_f16_e32 v206, v207, v206
	v_fma_f16 v68, v181, s34, v68
	v_fma_f16 v215, v187, s29, v229
	v_add_f16_e32 v68, v68, v206
	v_fma_f16 v67, v185, s27, v67
	v_add_f16_e32 v174, v215, v174
	v_mul_f16_e32 v215, 0x2de8, v192
	v_add_f16_e32 v67, v67, v68
	v_fma_f16 v68, v187, s23, v171
	v_fma_f16 v200, v189, s31, v215
	v_mul_f16_e32 v133, 0xb1e1, v133
	v_add_f16_e32 v67, v68, v67
	v_fma_f16 v68, v189, s28, v172
	v_add_f16_e32 v174, v200, v174
	v_fma_f16 v200, v102, s17, v133
	v_mul_f16_e32 v137, 0x35c8, v137
	v_fma_f16 v133, v102, s17, -v133
	v_add_f16_e32 v67, v68, v67
	v_fma_f16 v68, v102, s16, -v173
	v_fma_f16 v102, v102, s18, -v243
	v_mul_f16_e32 v209, 0xbbdd, v103
	v_fma_f16 v202, v103, s12, v137
	v_fma_f16 v137, v103, s12, -v137
	v_fma_f16 v69, v103, s18, -v69
	v_add_f16_e32 v102, v40, v102
	v_fma_f16 v103, v103, s19, -v245
	v_add_f16_e32 v102, v103, v102
	;; [unrolled: 2-line block ×5, first 2 shown]
	v_fma_f16 v103, v119, s15, -v249
	v_fma_f16 v190, v160, s23, v190
	v_add_f16_e32 v102, v103, v102
	v_fma_f16 v103, v127, s12, -v250
	v_add_f16_e32 v190, v23, v190
	v_fma_f16 v191, v161, s35, v191
	v_add_f16_e32 v102, v103, v102
	v_fma_f16 v103, v135, s16, -v251
	v_add_f16_e32 v200, v40, v200
	v_mul_f16_e32 v147, 0xb836, v147
	v_add_f16_e32 v190, v191, v190
	v_fma_f16 v195, v168, s30, v195
	v_add_f16_e32 v133, v40, v133
	v_add_f16_e32 v68, v40, v68
	v_add_f16_e32 v102, v103, v102
	v_add_f16_e32 v103, v153, v203
	v_mul_f16_e32 v216, 0xb461, v107
	v_add_f16_e32 v200, v202, v200
	v_fma_f16 v202, v107, s19, v147
	v_mul_f16_e32 v158, 0x3964, v158
	v_add_f16_e32 v190, v195, v190
	v_fma_f16 v196, v177, s24, v196
	v_add_f16_e32 v133, v137, v133
	v_fma_f16 v147, v107, s19, -v147
	v_add_f16_e32 v68, v69, v68
	v_fma_f16 v69, v107, s12, -v175
	v_add_f16_e32 v103, v23, v103
	v_add_f16_e32 v107, v154, v210
	;; [unrolled: 1-line block ×3, first 2 shown]
	v_fma_f16 v202, v110, s13, v158
	v_mul_f16_e32 v166, 0xba62, v166
	v_add_f16_e32 v190, v196, v190
	v_fma_f16 v197, v181, s21, v197
	v_add_f16_e32 v133, v147, v133
	v_fma_f16 v158, v110, s13, -v158
	v_add_f16_e32 v103, v107, v103
	v_add_f16_e32 v107, v162, v217
	;; [unrolled: 1-line block ×3, first 2 shown]
	v_fma_f16 v202, v114, s16, v166
	v_mul_f16_e32 v179, 0x3b29, v179
	v_add_f16_e32 v190, v197, v190
	v_fma_f16 v208, v185, s28, v208
	v_add_f16_e32 v133, v158, v133
	v_fma_f16 v166, v114, s16, -v166
	v_add_f16_e32 v103, v107, v103
	v_add_f16_e32 v107, v167, v224
	;; [unrolled: 1-line block ×3, first 2 shown]
	v_fma_f16 v202, v119, s14, v179
	v_mul_f16_e32 v183, 0xbbb2, v183
	v_mul_f16_e32 v191, 0xb461, v194
	;; [unrolled: 1-line block ×4, first 2 shown]
	v_add_f16_e32 v190, v208, v190
	v_fma_f16 v229, v187, s26, v229
	v_add_f16_e32 v133, v166, v133
	v_fma_f16 v179, v119, s14, -v179
	v_add_f16_e32 v103, v107, v103
	v_add_f16_e32 v107, v176, v232
	;; [unrolled: 1-line block ×3, first 2 shown]
	v_fma_f16 v202, v127, s18, v183
	v_add_f16_e32 v190, v229, v190
	v_mul_f16_e32 v229, 0xbacd, v193
	v_mul_f16_e32 v137, 0x3722, v193
	;; [unrolled: 1-line block ×4, first 2 shown]
	v_add_f16_e32 v133, v179, v133
	v_fma_f16 v183, v127, s18, -v183
	v_add_f16_e32 v103, v107, v103
	v_add_f16_e32 v107, v180, v194
	;; [unrolled: 1-line block ×3, first 2 shown]
	v_mul_f16_e32 v183, 0xbbdd, v192
	v_mul_f16_e32 v205, 0x3b76, v192
	;; [unrolled: 1-line block ×4, first 2 shown]
	v_add_f16_e32 v103, v107, v103
	v_add_f16_e32 v107, v184, v193
	;; [unrolled: 1-line block ×5, first 2 shown]
	v_accvgpr_read_b32 v107, a37
	v_sub_f16_e32 v100, v107, v100
	v_add_f16_e32 v100, v40, v100
	v_sub_f16_e32 v104, v209, v104
	v_mul_f16_e32 v223, 0x3b76, v110
	v_add_f16_e32 v100, v104, v100
	v_sub_f16_e32 v104, v216, v106
	v_mul_f16_e32 v231, 0x3722, v114
	v_add_f16_e32 v100, v104, v100
	v_sub_f16_e32 v104, v223, v109
	v_mul_f16_e32 v197, 0xbacd, v119
	v_add_f16_e32 v100, v104, v100
	v_sub_f16_e32 v104, v231, v112
	v_mul_f16_e32 v166, 0xb8d2, v127
	v_add_f16_e32 v100, v104, v100
	v_sub_f16_e32 v104, v197, v117
	v_mul_f16_e32 v226, 0x39e9, v135
	v_add_f16_e32 v100, v104, v100
	v_sub_f16_e32 v104, v166, v124
	v_add_f16_e32 v100, v104, v100
	v_sub_f16_e32 v104, v226, v134
	v_add_f16_e32 v100, v104, v100
	v_accvgpr_read_b32 v104, a31
	v_add_f16_e32 v104, v141, v104
	v_accvgpr_read_b32 v106, a33
	v_add_f16_e32 v104, v23, v104
	v_add_f16_e32 v106, v143, v106
	v_add_f16_e32 v104, v106, v104
	v_accvgpr_read_b32 v106, a36
	v_add_f16_e32 v106, v150, v106
	v_add_f16_e32 v104, v106, v104
	;; [unrolled: 1-line block ×12, first 2 shown]
	v_accvgpr_read_b32 v106, a25
	v_sub_f16_e32 v98, v106, v98
	v_accvgpr_read_b32 v106, a28
	v_add_f16_e32 v98, v40, v98
	v_sub_f16_e32 v99, v106, v99
	v_add_f16_e32 v98, v99, v98
	v_accvgpr_read_b32 v99, a30
	v_sub_f16_e32 v99, v99, v101
	v_add_f16_e32 v98, v99, v98
	v_accvgpr_read_b32 v99, a32
	;; [unrolled: 3-line block ×3, first 2 shown]
	v_mul_f16_e32 v195, 0x3b76, v119
	v_sub_f16_e32 v99, v99, v108
	v_mul_f16_e32 v147, 0x2de8, v127
	v_add_f16_e32 v98, v99, v98
	v_sub_f16_e32 v99, v195, v111
	v_mul_f16_e32 v244, 0xbacd, v135
	v_add_f16_e32 v98, v99, v98
	v_sub_f16_e32 v99, v147, v115
	v_add_f16_e32 v98, v99, v98
	v_sub_f16_e32 v99, v244, v121
	v_add_f16_e32 v98, v99, v98
	v_accvgpr_read_b32 v99, a20
	v_add_f16_e32 v99, v128, v99
	v_accvgpr_read_b32 v101, a22
	v_add_f16_e32 v99, v23, v99
	v_add_f16_e32 v101, v129, v101
	;; [unrolled: 1-line block ×3, first 2 shown]
	v_accvgpr_read_b32 v101, a24
	v_add_f16_e32 v101, v140, v101
	v_add_f16_e32 v99, v101, v99
	v_accvgpr_read_b32 v101, a27
	v_add_f16_e32 v101, v146, v101
	v_add_f16_e32 v99, v101, v99
	;; [unrolled: 3-line block ×3, first 2 shown]
	v_add_f16_e32 v101, v159, v191
	v_add_f16_e32 v99, v101, v99
	v_add_f16_e32 v101, v165, v137
	v_add_f16_e32 v99, v101, v99
	v_add_f16_e32 v101, v170, v205
	v_add_f16_e32 v99, v101, v99
	v_accvgpr_read_b32 v101, a13
	v_sub_f16_e32 v101, v101, v122
	v_accvgpr_read_b32 v105, a15
	v_add_f16_e32 v101, v40, v101
	v_sub_f16_e32 v105, v105, v123
	v_add_f16_e32 v101, v105, v101
	v_accvgpr_read_b32 v105, a18
	v_sub_f16_e32 v105, v105, v132
	v_add_f16_e32 v101, v105, v101
	v_accvgpr_read_b32 v105, a21
	v_mul_f16_e32 v188, 0x3bf7, v188
	v_sub_f16_e32 v105, v105, v139
	v_add_f16_e32 v200, v202, v200
	v_fma_f16 v202, v135, s15, v188
	v_add_f16_e32 v101, v105, v101
	v_accvgpr_read_b32 v105, a23
	v_add_f16_e32 v200, v202, v200
	v_mul_f16_e32 v202, 0xb461, v119
	v_fma_f16 v215, v189, s34, v215
	v_sub_f16_e32 v105, v105, v145
	v_add_f16_e32 v190, v215, v190
	v_mul_f16_e32 v215, 0x3722, v127
	v_fma_f16 v188, v135, s15, -v188
	v_add_f16_e32 v101, v105, v101
	v_sub_f16_e32 v105, v202, v151
	v_add_f16_e32 v133, v188, v133
	v_mul_f16_e32 v188, 0x3b76, v135
	v_add_f16_e32 v101, v105, v101
	v_sub_f16_e32 v105, v215, v157
	v_add_f16_e32 v101, v105, v101
	v_sub_f16_e32 v105, v188, v164
	v_add_f16_e32 v101, v105, v101
	v_accvgpr_read_b32 v105, a6
	v_add_f16_e32 v105, v116, v105
	v_accvgpr_read_b32 v106, a9
	v_add_f16_e32 v105, v23, v105
	v_add_f16_e32 v106, v118, v106
	;; [unrolled: 1-line block ×3, first 2 shown]
	v_accvgpr_read_b32 v106, a11
	v_add_f16_e32 v106, v126, v106
	v_add_f16_e32 v105, v106, v105
	v_accvgpr_read_b32 v106, a14
	v_add_f16_e32 v106, v131, v106
	v_add_f16_e32 v105, v106, v105
	v_accvgpr_read_b32 v106, a16
	v_add_f16_e32 v106, v138, v106
	v_add_f16_e32 v68, v69, v68
	v_fma_f16 v69, v110, s19, -v225
	v_add_f16_e32 v105, v106, v105
	v_accvgpr_read_b32 v106, a19
	v_add_f16_e32 v68, v69, v68
	v_fma_f16 v69, v114, s15, -v211
	v_add_f16_e32 v106, v144, v106
	v_add_f16_e32 v68, v69, v68
	v_fma_f16 v69, v119, s13, -v233
	v_add_f16_e32 v105, v106, v105
	v_add_f16_e32 v106, v149, v229
	v_add_f16_e32 v68, v69, v68
	v_fma_f16 v69, v127, s17, -v198
	v_add_f16_e32 v105, v106, v105
	;; [unrolled: 4-line block ×3, first 2 shown]
	v_accvgpr_read_b32 v106, a3
	v_add_f16_e32 v68, v69, v68
	v_fma_f16 v69, v160, s26, v235
	v_sub_f16_e32 v97, v106, v97
	v_add_f16_e32 v69, v23, v69
	v_add_f16_e32 v97, v40, v97
	;; [unrolled: 1-line block ×10, first 2 shown]
	v_accvgpr_read_b32 v106, a4
	v_add_f16_e32 v40, v40, v85
	v_add_f16_e32 v23, v23, v76
	v_sub_f16_e32 v106, v106, v113
	v_add_f16_e32 v40, v40, v86
	v_add_f16_e32 v23, v23, v44
	v_add_f16_e32 v97, v106, v97
	v_accvgpr_read_b32 v106, a5
	v_add_f16_e32 v40, v40, v87
	v_add_f16_e32 v23, v23, v45
	v_sub_f16_e32 v106, v106, v120
	v_add_f16_e32 v40, v40, v88
	v_add_f16_e32 v23, v23, v46
	v_add_f16_e32 v97, v106, v97
	;; [unrolled: 7-line block ×3, first 2 shown]
	v_accvgpr_read_b32 v106, a10
	v_add_f16_e32 v40, v40, v91
	v_add_f16_e32 v23, v23, v49
	v_fma_f16 v160, v161, s25, v236
	v_sub_f16_e32 v106, v106, v130
	v_add_f16_e32 v40, v40, v92
	v_add_f16_e32 v23, v23, v50
	;; [unrolled: 1-line block ×3, first 2 shown]
	v_fma_f16 v160, v168, s24, v237
	v_add_f16_e32 v97, v106, v97
	v_accvgpr_read_b32 v106, a12
	v_add_f16_e32 v40, v40, v93
	v_add_f16_e32 v23, v23, v77
	v_mul_f16_e32 v208, 0xbacd, v127
	v_add_f16_e32 v69, v160, v69
	v_fma_f16 v160, v177, s22, v238
	v_sub_f16_e32 v106, v106, v136
	v_add_f16_e32 v40, v40, v94
	v_add_f16_e32 v23, v23, v78
	v_mul_f16_e32 v179, 0xbbdd, v135
	v_add_f16_e32 v69, v160, v69
	v_fma_f16 v160, v181, s23, v239
	v_add_f16_e32 v97, v106, v97
	v_sub_f16_e32 v106, v208, v142
	v_add_f16_e32 v40, v40, v95
	v_add_f16_e32 v23, v23, v79
	;; [unrolled: 1-line block ×3, first 2 shown]
	v_fma_f16 v160, v185, s34, v240
	v_add_f16_e32 v97, v106, v97
	v_sub_f16_e32 v106, v179, v148
	v_add_f16_e32 v40, v40, v96
	v_add_f16_e32 v23, v23, v81
	;; [unrolled: 1-line block ×3, first 2 shown]
	v_fma_f16 v160, v187, s20, v241
	v_add_f16_e32 v97, v106, v97
	v_pack_b32_f16 v23, v40, v23
	v_add_f16_e32 v69, v160, v69
	v_fma_f16 v160, v189, s21, v242
	ds_write_b32 v54, v23
	v_lshl_add_u32 v23, v32, 2, v66
	v_pack_b32_f16 v40, v97, v105
	v_pack_b32_f16 v41, v101, v99
	v_add_f16_e32 v69, v160, v69
	ds_write2_b32 v23, v40, v41 offset0:52 offset1:104
	v_pack_b32_f16 v40, v98, v104
	v_pack_b32_f16 v41, v100, v103
	ds_write2_b32 v23, v40, v41 offset0:156 offset1:208
	v_pack_b32_f16 v40, v102, v69
	v_pack_b32_f16 v41, v68, v67
	v_add_u32_e32 v44, 0x400, v23
	ds_write2_b32 v44, v40, v41 offset0:4 offset1:56
	v_pack_b32_f16 v40, v201, v204
	v_pack_b32_f16 v41, v133, v190
	ds_write2_b32 v44, v40, v41 offset0:108 offset1:160
	v_pack_b32_f16 v40, v200, v174
	v_pack_b32_f16 v37, v37, v199
	v_add_u32_e32 v41, 0x600, v23
	ds_write2_b32 v41, v40, v37 offset0:84 offset1:136
	v_accvgpr_read_b32 v37, a26
	v_accvgpr_read_b32 v40, a35
	v_pack_b32_f16 v37, v40, v37
	v_accvgpr_read_b32 v40, a8
	v_accvgpr_read_b32 v41, a17
	v_pack_b32_f16 v40, v41, v40
	v_add_u32_e32 v41, 0x800, v23
	s_mov_b32 s12, 0x5040100
	ds_write2_b32 v41, v37, v40 offset0:60 offset1:112
	v_perm_b32 v37, v72, v38, s12
	v_perm_b32 v40, v53, v39, s12
	v_accvgpr_read_b32 v171, a0
	v_accvgpr_read_b32 v172, a1
	;; [unrolled: 1-line block ×3, first 2 shown]
	ds_write2_b32 v41, v37, v40 offset0:164 offset1:216
	v_perm_b32 v37, v31, v27, s12
	v_perm_b32 v40, v52, v51, s12
	v_add_u32_e32 v23, 0xc00, v23
	ds_write2_b32 v23, v37, v40 offset0:12 offset1:64
.LBB0_9:
	s_or_b64 exec, exec, s[10:11]
	s_waitcnt lgkmcnt(0)
	s_barrier
	global_load_dword v37, v[42:43], off offset:3536
	s_add_u32 s8, s8, 0xdd0
	s_addc_u32 s9, s9, 0
	global_load_dword v67, v36, s[8:9] offset:272
	global_load_dword v68, v36, s[8:9] offset:544
	;; [unrolled: 1-line block ×10, first 2 shown]
	v_add_u32_e32 v81, 0x200, v54
	ds_read2_b32 v[40:41], v54 offset1:68
	v_lshl_add_u32 v50, v32, 2, v66
	ds_read2_b32 v[42:43], v81 offset0:8 offset1:144
	ds_read_b32 v83, v50 offset:816
	global_load_dword v84, v36, s[8:9] offset:2992
	v_add_u32_e32 v23, 0x400, v54
	v_add_u32_e32 v82, 0x600, v54
	;; [unrolled: 1-line block ×3, first 2 shown]
	ds_read2_b32 v[44:45], v23 offset0:84 offset1:152
	ds_read2_b32 v[46:47], v82 offset0:92 offset1:160
	ds_read2_b32 v[48:49], v73 offset0:100 offset1:168
	global_load_dword v85, v36, s[8:9] offset:3264
	s_waitcnt lgkmcnt(5)
	v_lshrrev_b32_e32 v36, 16, v40
	v_lshrrev_b32_e32 v86, 16, v41
	s_waitcnt lgkmcnt(4)
	v_lshrrev_b32_e32 v87, 16, v42
	s_waitcnt lgkmcnt(3)
	v_lshrrev_b32_e32 v88, 16, v83
	v_lshrrev_b32_e32 v89, 16, v43
	s_waitcnt lgkmcnt(2)
	v_lshrrev_b32_e32 v90, 16, v44
	;; [unrolled: 3-line block ×3, first 2 shown]
	v_lshrrev_b32_e32 v93, 16, v47
	s_mov_b32 s22, 0xb770
	s_movk_i32 s11, 0x3b15
	s_mov_b32 s16, 0xba95
	s_movk_i32 s10, 0x388b
	s_movk_i32 s12, 0x3770
	s_mov_b32 s13, 0xbb7b
	s_mov_b32 s20, 0xffff
	;; [unrolled: 1-line block ×3, first 2 shown]
	s_movk_i32 s18, 0x3a95
	s_mov_b32 s25, 0xbbf1
	s_movk_i32 s8, 0x2fb7
	s_mov_b32 s21, 0xb3a8
	s_mov_b32 s23, 0xbbc4
	s_movk_i32 s9, 0x3bf1
	s_movk_i32 s24, 0x394e
	s_mov_b32 s17, 0xb9fd
	s_movk_i32 s26, 0x33a8
	s_movk_i32 s19, 0x3b7b
	s_mov_b32 s15, 0xb94e
	s_waitcnt vmcnt(9)
	v_mul_f16_sdwa v96, v88, v69 dst_sel:DWORD dst_unused:UNUSED_PAD src0_sel:DWORD src1_sel:WORD_1
	v_mul_f16_sdwa v97, v83, v69 dst_sel:DWORD dst_unused:UNUSED_PAD src0_sel:DWORD src1_sel:WORD_1
	s_waitcnt vmcnt(8)
	v_mul_f16_sdwa v98, v89, v74 dst_sel:DWORD dst_unused:UNUSED_PAD src0_sel:DWORD src1_sel:WORD_1
	v_mul_f16_sdwa v99, v43, v74 dst_sel:DWORD dst_unused:UNUSED_PAD src0_sel:DWORD src1_sel:WORD_1
	;; [unrolled: 1-line block ×4, first 2 shown]
	v_fma_f16 v40, v40, v37, -v94
	v_fma_f16 v36, v36, v37, v95
	v_pack_b32_f16 v36, v40, v36
	v_mul_f16_sdwa v37, v86, v67 dst_sel:DWORD dst_unused:UNUSED_PAD src0_sel:DWORD src1_sel:WORD_1
	v_mul_f16_sdwa v40, v41, v67 dst_sel:DWORD dst_unused:UNUSED_PAD src0_sel:DWORD src1_sel:WORD_1
	;; [unrolled: 1-line block ×4, first 2 shown]
	s_waitcnt vmcnt(7)
	v_mul_f16_sdwa v100, v90, v75 dst_sel:DWORD dst_unused:UNUSED_PAD src0_sel:DWORD src1_sel:WORD_1
	v_mul_f16_sdwa v101, v44, v75 dst_sel:DWORD dst_unused:UNUSED_PAD src0_sel:DWORD src1_sel:WORD_1
	s_waitcnt vmcnt(6)
	v_mul_f16_sdwa v102, v91, v76 dst_sel:DWORD dst_unused:UNUSED_PAD src0_sel:DWORD src1_sel:WORD_1
	v_mul_f16_sdwa v103, v45, v76 dst_sel:DWORD dst_unused:UNUSED_PAD src0_sel:DWORD src1_sel:WORD_1
	;; [unrolled: 3-line block ×4, first 2 shown]
	v_fma_f16 v37, v41, v67, -v37
	v_fma_f16 v40, v86, v67, v40
	v_fma_f16 v41, v42, v68, -v94
	v_fma_f16 v42, v87, v68, v95
	;; [unrolled: 2-line block ×8, first 2 shown]
	v_pack_b32_f16 v37, v37, v40
	v_pack_b32_f16 v40, v41, v42
	;; [unrolled: 1-line block ×7, first 2 shown]
	ds_write2_b32 v54, v36, v37 offset1:68
	ds_write_b32 v50, v41 offset:816
	ds_write2_b32 v81, v40, v42 offset0:8 offset1:144
	ds_write2_b32 v23, v43, v44 offset0:84 offset1:152
	v_pack_b32_f16 v36, v47, v77
	ds_write2_b32 v82, v45, v36 offset0:92 offset1:160
	s_waitcnt lgkmcnt(5)
	v_lshrrev_b32_e32 v36, 16, v48
	s_waitcnt vmcnt(3)
	v_mul_f16_sdwa v37, v36, v79 dst_sel:DWORD dst_unused:UNUSED_PAD src0_sel:DWORD src1_sel:WORD_1
	v_mul_f16_sdwa v40, v48, v79 dst_sel:DWORD dst_unused:UNUSED_PAD src0_sel:DWORD src1_sel:WORD_1
	v_fma_f16 v37, v48, v79, -v37
	v_fma_f16 v36, v36, v79, v40
	v_lshrrev_b32_e32 v41, 16, v49
	v_pack_b32_f16 v40, v37, v36
	s_waitcnt vmcnt(2)
	v_mul_f16_sdwa v36, v41, v80 dst_sel:DWORD dst_unused:UNUSED_PAD src0_sel:DWORD src1_sel:WORD_1
	v_add_u32_e32 v67, 0xa00, v54
	v_fma_f16 v42, v49, v80, -v36
	ds_read2_b32 v[36:37], v67 offset0:108 offset1:176
	v_mul_f16_sdwa v43, v49, v80 dst_sel:DWORD dst_unused:UNUSED_PAD src0_sel:DWORD src1_sel:WORD_1
	v_fma_f16 v41, v41, v80, v43
	v_pack_b32_f16 v41, v42, v41
	ds_write2_b32 v73, v40, v41 offset0:100 offset1:168
	s_waitcnt lgkmcnt(1)
	v_lshrrev_b32_e32 v40, 16, v36
	s_waitcnt vmcnt(1)
	v_mul_f16_sdwa v41, v40, v84 dst_sel:DWORD dst_unused:UNUSED_PAD src0_sel:DWORD src1_sel:WORD_1
	v_fma_f16 v41, v36, v84, -v41
	v_mul_f16_sdwa v36, v36, v84 dst_sel:DWORD dst_unused:UNUSED_PAD src0_sel:DWORD src1_sel:WORD_1
	v_fma_f16 v36, v40, v84, v36
	v_lshrrev_b32_e32 v40, 16, v37
	v_pack_b32_f16 v36, v41, v36
	s_waitcnt vmcnt(0)
	v_mul_f16_sdwa v41, v40, v85 dst_sel:DWORD dst_unused:UNUSED_PAD src0_sel:DWORD src1_sel:WORD_1
	v_fma_f16 v41, v37, v85, -v41
	v_mul_f16_sdwa v37, v37, v85 dst_sel:DWORD dst_unused:UNUSED_PAD src0_sel:DWORD src1_sel:WORD_1
	v_fma_f16 v37, v40, v85, v37
	v_pack_b32_f16 v37, v41, v37
	ds_write2_b32 v67, v36, v37 offset0:108 offset1:176
	s_waitcnt lgkmcnt(0)
	s_barrier
	ds_read2_b32 v[36:37], v54 offset1:68
	ds_read2_b32 v[48:49], v81 offset0:8 offset1:144
	ds_read_b32 v68, v50 offset:816
	ds_read2_b32 v[42:43], v23 offset0:84 offset1:152
	ds_read2_b32 v[44:45], v82 offset0:92 offset1:160
	;; [unrolled: 1-line block ×4, first 2 shown]
	s_waitcnt lgkmcnt(6)
	v_pk_add_f16 v69, v36, v37
	s_waitcnt lgkmcnt(0)
	v_pk_add_f16 v69, v69, v48
	s_barrier
	v_pk_add_f16 v74, v41, v37
	v_pk_add_f16 v37, v37, v41 neg_lo:[0,1] neg_hi:[0,1]
	v_pk_add_f16 v94, v40, v48
	v_mul_f16_sdwa v75, v37, s22 dst_sel:DWORD dst_unused:UNUSED_PAD src0_sel:WORD_1 src1_sel:DWORD
	v_pk_add_f16 v48, v48, v40 neg_lo:[0,1] neg_hi:[0,1]
	v_fma_f16 v76, v74, s11, v75
	v_mul_f16_sdwa v95, v48, s16 dst_sel:DWORD dst_unused:UNUSED_PAD src0_sel:WORD_1 src1_sel:DWORD
	v_add_f16_e32 v76, v36, v76
	v_mul_f16_sdwa v77, v74, s11 dst_sel:DWORD dst_unused:UNUSED_PAD src0_sel:WORD_1 src1_sel:DWORD
	v_fma_f16 v75, v74, s11, -v75
	v_fma_f16 v96, v94, s10, v95
	v_fma_f16 v78, v37, s12, v77
	v_add_f16_e32 v75, v36, v75
	v_fma_f16 v77, v37, s22, v77
	v_add_f16_e32 v76, v96, v76
	v_mul_f16_sdwa v96, v94, s10 dst_sel:DWORD dst_unused:UNUSED_PAD src0_sel:WORD_1 src1_sel:DWORD
	v_fma_f16 v95, v94, s10, -v95
	v_add_f16_sdwa v77, v36, v77 dst_sel:DWORD dst_unused:UNUSED_PAD src0_sel:WORD_1 src1_sel:DWORD
	v_pk_mul_f16 v79, v37, s16 op_sel_hi:[1,0]
	v_add_f16_e32 v75, v95, v75
	v_fma_f16 v95, v48, s16, v96
	v_pk_fma_f16 v80, v74, s10, v79 op_sel:[0,0,1] op_sel_hi:[1,0,0]
	v_pk_fma_f16 v79, v74, s10, v79 op_sel:[0,0,1] op_sel_hi:[1,0,0] neg_lo:[0,0,1] neg_hi:[0,0,1]
	v_add_f16_e32 v77, v95, v77
	v_pk_mul_f16 v95, v48, s13 op_sel_hi:[1,0]
	v_add_f16_sdwa v78, v36, v78 dst_sel:DWORD dst_unused:UNUSED_PAD src0_sel:WORD_1 src1_sel:DWORD
	v_bfi_b32 v81, s20, v80, v79
	v_fma_f16 v97, v48, s18, v96
	v_pk_fma_f16 v96, v94, s14, v95 op_sel:[0,0,1] op_sel_hi:[1,0,0]
	v_pk_fma_f16 v95, v94, s14, v95 op_sel:[0,0,1] op_sel_hi:[1,0,0] neg_lo:[0,0,1] neg_hi:[0,0,1]
	v_pk_add_f16 v81, v36, v81
	v_mul_f16_sdwa v82, v37, s25 dst_sel:DWORD dst_unused:UNUSED_PAD src0_sel:WORD_1 src1_sel:DWORD
	v_add_f16_e32 v78, v97, v78
	v_bfi_b32 v97, s20, v96, v95
	v_fma_f16 v83, v74, s8, v82
	v_pk_add_f16 v81, v97, v81
	v_mul_f16_sdwa v97, v48, s21 dst_sel:DWORD dst_unused:UNUSED_PAD src0_sel:WORD_1 src1_sel:DWORD
	v_add_f16_e32 v83, v36, v83
	v_mul_f16_sdwa v84, v74, s8 dst_sel:DWORD dst_unused:UNUSED_PAD src0_sel:WORD_1 src1_sel:DWORD
	v_fma_f16 v82, v74, s8, -v82
	v_fma_f16 v98, v94, s23, v97
	v_fma_f16 v85, v37, s9, v84
	v_add_f16_e32 v82, v36, v82
	v_fma_f16 v84, v37, s25, v84
	v_add_f16_e32 v83, v98, v83
	v_mul_f16_sdwa v98, v94, s23 dst_sel:DWORD dst_unused:UNUSED_PAD src0_sel:WORD_1 src1_sel:DWORD
	v_fma_f16 v97, v94, s23, -v97
	v_add_f16_sdwa v84, v36, v84 dst_sel:DWORD dst_unused:UNUSED_PAD src0_sel:WORD_1 src1_sel:DWORD
	v_mul_f16_sdwa v86, v37, s13 dst_sel:DWORD dst_unused:UNUSED_PAD src0_sel:WORD_1 src1_sel:DWORD
	v_add_f16_e32 v82, v97, v82
	v_fma_f16 v97, v48, s21, v98
	v_fma_f16 v87, v74, s14, v86
	v_add_f16_e32 v84, v97, v84
	v_mul_f16_sdwa v97, v48, s24 dst_sel:DWORD dst_unused:UNUSED_PAD src0_sel:WORD_1 src1_sel:DWORD
	v_add_f16_e32 v87, v36, v87
	v_mul_f16_sdwa v88, v74, s14 dst_sel:DWORD dst_unused:UNUSED_PAD src0_sel:WORD_1 src1_sel:DWORD
	v_fma_f16 v86, v74, s14, -v86
	v_fma_f16 v99, v48, s26, v98
	v_fma_f16 v98, v94, s17, v97
	;; [unrolled: 1-line block ×3, first 2 shown]
	v_add_f16_e32 v86, v36, v86
	v_fma_f16 v88, v37, s13, v88
	v_add_f16_e32 v87, v98, v87
	v_mul_f16_sdwa v98, v94, s17 dst_sel:DWORD dst_unused:UNUSED_PAD src0_sel:WORD_1 src1_sel:DWORD
	v_fma_f16 v97, v94, s17, -v97
	v_add_f16_sdwa v88, v36, v88 dst_sel:DWORD dst_unused:UNUSED_PAD src0_sel:WORD_1 src1_sel:DWORD
	v_mul_f16_sdwa v90, v37, s15 dst_sel:DWORD dst_unused:UNUSED_PAD src0_sel:WORD_1 src1_sel:DWORD
	v_add_f16_e32 v86, v97, v86
	v_fma_f16 v97, v48, s24, v98
	v_add_f16_sdwa v85, v36, v85 dst_sel:DWORD dst_unused:UNUSED_PAD src0_sel:WORD_1 src1_sel:DWORD
	v_fma_f16 v91, v74, s17, v90
	v_add_f16_e32 v88, v97, v88
	v_mul_f16_sdwa v97, v48, s9 dst_sel:DWORD dst_unused:UNUSED_PAD src0_sel:WORD_1 src1_sel:DWORD
	v_add_f16_e32 v91, v36, v91
	v_mul_f16_sdwa v92, v74, s17 dst_sel:DWORD dst_unused:UNUSED_PAD src0_sel:WORD_1 src1_sel:DWORD
	v_fma_f16 v90, v74, s17, -v90
	v_add_f16_e32 v85, v99, v85
	v_fma_f16 v99, v48, s15, v98
	v_fma_f16 v98, v94, s8, v97
	;; [unrolled: 1-line block ×3, first 2 shown]
	v_add_f16_e32 v90, v36, v90
	v_fma_f16 v92, v37, s15, v92
	v_add_f16_e32 v91, v98, v91
	v_mul_f16_sdwa v98, v94, s8 dst_sel:DWORD dst_unused:UNUSED_PAD src0_sel:WORD_1 src1_sel:DWORD
	v_fma_f16 v97, v94, s8, -v97
	v_add_f16_sdwa v92, v36, v92 dst_sel:DWORD dst_unused:UNUSED_PAD src0_sel:WORD_1 src1_sel:DWORD
	v_add_f16_e32 v90, v97, v90
	v_fma_f16 v97, v48, s9, v98
	v_pk_add_f16 v69, v69, v68
	v_add_f16_sdwa v89, v36, v89 dst_sel:DWORD dst_unused:UNUSED_PAD src0_sel:WORD_1 src1_sel:DWORD
	v_add_f16_e32 v92, v97, v92
	v_pk_add_f16 v97, v47, v68
	v_pk_add_f16 v68, v68, v47 neg_lo:[0,1] neg_hi:[0,1]
	v_add_f16_sdwa v93, v36, v93 dst_sel:DWORD dst_unused:UNUSED_PAD src0_sel:WORD_1 src1_sel:DWORD
	v_add_f16_e32 v89, v99, v89
	v_fma_f16 v99, v48, s25, v98
	v_mul_f16_sdwa v98, v68, s25 dst_sel:DWORD dst_unused:UNUSED_PAD src0_sel:WORD_1 src1_sel:DWORD
	v_add_f16_e32 v93, v99, v93
	v_fma_f16 v99, v97, s8, v98
	v_add_f16_e32 v76, v99, v76
	v_mul_f16_sdwa v99, v97, s8 dst_sel:DWORD dst_unused:UNUSED_PAD src0_sel:WORD_1 src1_sel:DWORD
	v_fma_f16 v98, v97, s8, -v98
	v_add_f16_e32 v75, v98, v75
	v_fma_f16 v98, v68, s25, v99
	v_add_f16_e32 v77, v98, v77
	v_pk_mul_f16 v98, v68, s21 op_sel_hi:[1,0]
	v_fma_f16 v100, v68, s9, v99
	v_pk_fma_f16 v99, v97, s23, v98 op_sel:[0,0,1] op_sel_hi:[1,0,0]
	v_pk_fma_f16 v98, v97, s23, v98 op_sel:[0,0,1] op_sel_hi:[1,0,0] neg_lo:[0,0,1] neg_hi:[0,0,1]
	v_add_f16_e32 v78, v100, v78
	v_bfi_b32 v100, s20, v99, v98
	v_pk_add_f16 v81, v100, v81
	v_mul_f16_sdwa v100, v68, s19 dst_sel:DWORD dst_unused:UNUSED_PAD src0_sel:WORD_1 src1_sel:DWORD
	v_fma_f16 v101, v97, s14, v100
	v_add_f16_e32 v83, v101, v83
	v_mul_f16_sdwa v101, v97, s14 dst_sel:DWORD dst_unused:UNUSED_PAD src0_sel:WORD_1 src1_sel:DWORD
	v_fma_f16 v100, v97, s14, -v100
	v_add_f16_e32 v82, v100, v82
	v_fma_f16 v100, v68, s19, v101
	v_add_f16_e32 v84, v100, v84
	v_mul_f16_sdwa v100, v68, s12 dst_sel:DWORD dst_unused:UNUSED_PAD src0_sel:WORD_1 src1_sel:DWORD
	v_fma_f16 v102, v68, s13, v101
	v_fma_f16 v101, v97, s11, v100
	v_add_f16_e32 v87, v101, v87
	v_mul_f16_sdwa v101, v97, s11 dst_sel:DWORD dst_unused:UNUSED_PAD src0_sel:WORD_1 src1_sel:DWORD
	v_fma_f16 v100, v97, s11, -v100
	v_add_f16_e32 v86, v100, v86
	v_fma_f16 v100, v68, s12, v101
	v_add_f16_e32 v88, v100, v88
	v_mul_f16_sdwa v100, v68, s16 dst_sel:DWORD dst_unused:UNUSED_PAD src0_sel:WORD_1 src1_sel:DWORD
	v_add_f16_e32 v85, v102, v85
	v_fma_f16 v102, v68, s22, v101
	v_fma_f16 v101, v97, s10, v100
	v_add_f16_e32 v91, v101, v91
	v_mul_f16_sdwa v101, v97, s10 dst_sel:DWORD dst_unused:UNUSED_PAD src0_sel:WORD_1 src1_sel:DWORD
	v_fma_f16 v100, v97, s10, -v100
	v_add_f16_e32 v90, v100, v90
	v_fma_f16 v100, v68, s16, v101
	v_pk_add_f16 v69, v69, v49
	v_add_f16_e32 v92, v100, v92
	v_pk_add_f16 v100, v46, v49
	v_pk_add_f16 v49, v49, v46 neg_lo:[0,1] neg_hi:[0,1]
	v_add_f16_e32 v89, v102, v89
	v_fma_f16 v102, v68, s18, v101
	v_mul_f16_sdwa v101, v49, s13 dst_sel:DWORD dst_unused:UNUSED_PAD src0_sel:WORD_1 src1_sel:DWORD
	v_add_f16_e32 v93, v102, v93
	v_fma_f16 v102, v100, s14, v101
	v_add_f16_e32 v76, v102, v76
	v_mul_f16_sdwa v102, v100, s14 dst_sel:DWORD dst_unused:UNUSED_PAD src0_sel:WORD_1 src1_sel:DWORD
	v_fma_f16 v101, v100, s14, -v101
	v_add_f16_e32 v75, v101, v75
	v_fma_f16 v101, v49, s13, v102
	v_add_f16_e32 v77, v101, v77
	v_pk_mul_f16 v101, v49, s24 op_sel_hi:[1,0]
	v_fma_f16 v103, v49, s19, v102
	v_pk_fma_f16 v102, v100, s17, v101 op_sel:[0,0,1] op_sel_hi:[1,0,0]
	v_pk_fma_f16 v101, v100, s17, v101 op_sel:[0,0,1] op_sel_hi:[1,0,0] neg_lo:[0,0,1] neg_hi:[0,0,1]
	v_add_f16_e32 v78, v103, v78
	v_bfi_b32 v103, s20, v102, v101
	v_pk_add_f16 v81, v103, v81
	v_mul_f16_sdwa v103, v49, s12 dst_sel:DWORD dst_unused:UNUSED_PAD src0_sel:WORD_1 src1_sel:DWORD
	v_fma_f16 v104, v100, s11, v103
	v_add_f16_e32 v83, v104, v83
	v_mul_f16_sdwa v104, v100, s11 dst_sel:DWORD dst_unused:UNUSED_PAD src0_sel:WORD_1 src1_sel:DWORD
	v_fma_f16 v103, v100, s11, -v103
	v_add_f16_e32 v82, v103, v82
	v_fma_f16 v103, v49, s12, v104
	v_add_f16_e32 v84, v103, v84
	v_mul_f16_sdwa v103, v49, s25 dst_sel:DWORD dst_unused:UNUSED_PAD src0_sel:WORD_1 src1_sel:DWORD
	v_fma_f16 v105, v49, s22, v104
	v_fma_f16 v104, v100, s8, v103
	v_add_f16_e32 v87, v104, v87
	v_mul_f16_sdwa v104, v100, s8 dst_sel:DWORD dst_unused:UNUSED_PAD src0_sel:WORD_1 src1_sel:DWORD
	v_fma_f16 v103, v100, s8, -v103
	v_add_f16_e32 v86, v103, v86
	v_fma_f16 v103, v49, s25, v104
	v_add_f16_e32 v88, v103, v88
	v_mul_f16_sdwa v103, v49, s26 dst_sel:DWORD dst_unused:UNUSED_PAD src0_sel:WORD_1 src1_sel:DWORD
	v_add_f16_e32 v85, v105, v85
	v_fma_f16 v105, v49, s9, v104
	v_fma_f16 v104, v100, s23, v103
	v_pk_add_f16 v69, v69, v42
	v_add_f16_e32 v91, v104, v91
	v_mul_f16_sdwa v104, v100, s23 dst_sel:DWORD dst_unused:UNUSED_PAD src0_sel:WORD_1 src1_sel:DWORD
	v_fma_f16 v103, v100, s23, -v103
	v_pk_add_f16 v69, v69, v43
	v_add_f16_e32 v90, v103, v90
	v_fma_f16 v103, v49, s26, v104
	v_pk_add_f16 v69, v69, v44
	v_add_f16_e32 v92, v103, v92
	v_pk_add_f16 v103, v45, v42
	v_pk_add_f16 v42, v42, v45 neg_lo:[0,1] neg_hi:[0,1]
	v_pk_add_f16 v69, v69, v45
	v_mul_f16_sdwa v45, v42, s15 dst_sel:DWORD dst_unused:UNUSED_PAD src0_sel:WORD_1 src1_sel:DWORD
	v_add_f16_e32 v89, v105, v89
	v_fma_f16 v105, v49, s21, v104
	v_fma_f16 v104, v103, s17, v45
	v_add_f16_e32 v76, v104, v76
	v_mul_f16_sdwa v104, v103, s17 dst_sel:DWORD dst_unused:UNUSED_PAD src0_sel:WORD_1 src1_sel:DWORD
	v_fma_f16 v45, v103, s17, -v45
	v_add_f16_e32 v45, v45, v75
	v_fma_f16 v75, v42, s15, v104
	v_add_f16_e32 v93, v105, v93
	v_fma_f16 v105, v42, s24, v104
	v_add_f16_e32 v75, v75, v77
	v_pk_mul_f16 v77, v42, s9 op_sel_hi:[1,0]
	v_add_f16_e32 v78, v105, v78
	v_pk_fma_f16 v104, v103, s8, v77 op_sel:[0,0,1] op_sel_hi:[1,0,0]
	v_pk_fma_f16 v105, v103, s8, v77 op_sel:[0,0,1] op_sel_hi:[1,0,0] neg_lo:[0,0,1] neg_hi:[0,0,1]
	v_pk_add_f16 v46, v69, v46
	v_bfi_b32 v77, s20, v104, v105
	v_pk_add_f16 v81, v77, v81
	v_mul_f16_sdwa v77, v42, s16 dst_sel:DWORD dst_unused:UNUSED_PAD src0_sel:WORD_1 src1_sel:DWORD
	v_fma_f16 v106, v103, s10, v77
	v_add_f16_e32 v83, v106, v83
	v_mul_f16_sdwa v106, v103, s10 dst_sel:DWORD dst_unused:UNUSED_PAD src0_sel:WORD_1 src1_sel:DWORD
	v_fma_f16 v77, v103, s10, -v77
	v_add_f16_e32 v82, v77, v82
	v_fma_f16 v77, v42, s16, v106
	v_add_f16_e32 v84, v77, v84
	v_mul_f16_sdwa v77, v42, s26 dst_sel:DWORD dst_unused:UNUSED_PAD src0_sel:WORD_1 src1_sel:DWORD
	v_fma_f16 v107, v42, s18, v106
	v_fma_f16 v106, v103, s23, v77
	v_add_f16_e32 v87, v106, v87
	v_mul_f16_sdwa v106, v103, s23 dst_sel:DWORD dst_unused:UNUSED_PAD src0_sel:WORD_1 src1_sel:DWORD
	v_fma_f16 v77, v103, s23, -v77
	v_add_f16_e32 v86, v77, v86
	v_fma_f16 v77, v42, s26, v106
	v_add_f16_e32 v88, v77, v88
	v_mul_f16_sdwa v77, v42, s12 dst_sel:DWORD dst_unused:UNUSED_PAD src0_sel:WORD_1 src1_sel:DWORD
	v_add_f16_e32 v85, v107, v85
	v_fma_f16 v107, v42, s21, v106
	v_fma_f16 v106, v103, s11, v77
	v_add_f16_e32 v91, v106, v91
	v_mul_f16_sdwa v106, v103, s11 dst_sel:DWORD dst_unused:UNUSED_PAD src0_sel:WORD_1 src1_sel:DWORD
	v_fma_f16 v77, v103, s11, -v77
	v_add_f16_e32 v89, v107, v89
	v_fma_f16 v107, v42, s22, v106
	v_add_f16_e32 v90, v77, v90
	v_fma_f16 v77, v42, s12, v106
	v_pk_add_f16 v106, v43, v44 neg_lo:[0,1] neg_hi:[0,1]
	v_add_f16_e32 v92, v77, v92
	v_pk_mul_f16 v77, v106, s21 op_sel_hi:[1,0]
	v_pk_add_f16 v46, v46, v47
	v_pk_add_f16 v43, v44, v43
	;; [unrolled: 1-line block ×3, first 2 shown]
	v_pk_fma_f16 v46, v43, s23, v77 op_sel:[0,0,1] op_sel_hi:[1,0,0]
	v_pk_fma_f16 v47, v43, s23, v77 op_sel:[0,0,1] op_sel_hi:[1,0,0] neg_lo:[0,0,1] neg_hi:[0,0,1]
	v_pk_mul_f16 v44, v43, s23 op_sel_hi:[1,0]
	v_bfi_b32 v46, s20, v46, v47
	v_pack_b32_f16 v47, v76, v78
	v_pk_add_f16 v46, v46, v47
	v_add_f16_e32 v47, v36, v79
	v_add_f16_e32 v47, v95, v47
	v_pk_add_f16 v40, v40, v41
	v_sub_f16_sdwa v41, v44, v77 dst_sel:DWORD dst_unused:UNUSED_PAD src0_sel:DWORD src1_sel:WORD_1
	v_add_f16_e32 v47, v98, v47
	v_add_f16_e32 v93, v107, v93
	v_pk_mul_f16 v107, v106, s12 op_sel_hi:[1,0]
	v_add_f16_e32 v76, v41, v45
	v_add_f16_sdwa v41, v77, v44 dst_sel:DWORD dst_unused:UNUSED_PAD src0_sel:DWORD src1_sel:WORD_1
	v_add_f16_e32 v47, v101, v47
	v_add_f16_e32 v77, v41, v75
	v_pk_fma_f16 v41, v43, s11, v107 op_sel:[0,0,1] op_sel_hi:[1,0,0]
	v_pk_fma_f16 v44, v43, s11, v107 op_sel:[0,0,1] op_sel_hi:[1,0,0] neg_lo:[0,0,1] neg_hi:[0,0,1]
	v_add_f16_e32 v47, v105, v47
	v_bfi_b32 v45, s20, v41, v44
	v_add_f16_e32 v44, v44, v47
	v_add_f16_sdwa v47, v36, v80 dst_sel:DWORD dst_unused:UNUSED_PAD src0_sel:WORD_1 src1_sel:WORD_1
	v_add_f16_sdwa v47, v96, v47 dst_sel:DWORD dst_unused:UNUSED_PAD src0_sel:WORD_1 src1_sel:DWORD
	v_add_f16_sdwa v47, v99, v47 dst_sel:DWORD dst_unused:UNUSED_PAD src0_sel:WORD_1 src1_sel:DWORD
	;; [unrolled: 1-line block ×3, first 2 shown]
	v_mul_f16_sdwa v69, v43, s17 dst_sel:DWORD dst_unused:UNUSED_PAD src0_sel:WORD_1 src1_sel:DWORD
	v_mul_f16_sdwa v108, v106, s15 dst_sel:DWORD dst_unused:UNUSED_PAD src0_sel:WORD_1 src1_sel:DWORD
	v_add_f16_sdwa v47, v104, v47 dst_sel:DWORD dst_unused:UNUSED_PAD src0_sel:WORD_1 src1_sel:DWORD
	v_fma_f16 v75, v106, s24, v69
	v_fma_f16 v69, v106, s15, v69
	v_mul_f16_sdwa v109, v106, s18 dst_sel:DWORD dst_unused:UNUSED_PAD src0_sel:WORD_1 src1_sel:DWORD
	v_mul_f16_sdwa v110, v106, s13 dst_sel:DWORD dst_unused:UNUSED_PAD src0_sel:WORD_1 src1_sel:DWORD
	v_add_f16_sdwa v41, v41, v47 dst_sel:DWORD dst_unused:UNUSED_PAD src0_sel:WORD_1 src1_sel:DWORD
	v_fma_f16 v47, v43, s17, v108
	v_add_f16_e32 v69, v69, v84
	v_mul_f16_sdwa v80, v43, s10 dst_sel:DWORD dst_unused:UNUSED_PAD src0_sel:WORD_1 src1_sel:DWORD
	v_mul_f16_sdwa v84, v43, s14 dst_sel:DWORD dst_unused:UNUSED_PAD src0_sel:WORD_1 src1_sel:DWORD
	v_pk_add_f16 v45, v45, v81
	v_add_f16_e32 v47, v47, v83
	v_add_f16_e32 v75, v75, v85
	v_fma_f16 v79, v43, s10, v109
	v_fma_f16 v81, v106, s16, v80
	;; [unrolled: 1-line block ×4, first 2 shown]
	v_add_f16_e32 v79, v79, v87
	v_add_f16_e32 v81, v81, v89
	;; [unrolled: 1-line block ×4, first 2 shown]
	ds_write2_b32 v19, v40, v46 offset1:1
	v_pack_b32_f16 v40, v47, v75
	ds_write2_b32 v19, v45, v40 offset0:2 offset1:3
	v_pack_b32_f16 v40, v83, v85
	v_pack_b32_f16 v45, v79, v81
	ds_write2_b32 v19, v45, v40 offset0:4 offset1:5
	v_pk_mul_f16 v40, v74, s23 op_sel_hi:[1,0]
	v_fma_f16 v78, v43, s17, -v108
	v_pk_fma_f16 v45, v37, s21, v40 op_sel:[0,0,1] op_sel_hi:[1,0,0]
	v_pk_fma_f16 v37, v37, s21, v40 op_sel:[0,0,1] op_sel_hi:[1,0,0] neg_lo:[1,0,0] neg_hi:[1,0,0]
	v_alignbit_b32 v46, s0, v45, 16
	v_pk_add_f16 v46, v36, v46
	v_pk_add_f16 v37, v36, v37 op_sel:[1,0] op_sel_hi:[0,1]
	v_alignbit_b32 v36, s0, v36, 16
	v_pk_mul_f16 v40, v94, s11 op_sel_hi:[1,0]
	v_pk_add_f16 v36, v36, v45
	v_pk_fma_f16 v45, v48, s12, v40 op_sel:[0,0,1] op_sel_hi:[1,0,0]
	v_pk_fma_f16 v40, v48, s12, v40 op_sel:[0,0,1] op_sel_hi:[1,0,0] neg_lo:[1,0,0] neg_hi:[1,0,0]
	v_alignbit_b32 v47, s0, v45, 16
	v_pk_add_f16 v37, v40, v37
	v_pk_mul_f16 v40, v97, s17 op_sel_hi:[1,0]
	v_pk_add_f16 v36, v45, v36
	v_pk_fma_f16 v45, v68, s15, v40 op_sel:[0,0,1] op_sel_hi:[1,0,0]
	v_pk_fma_f16 v40, v68, s15, v40 op_sel:[0,0,1] op_sel_hi:[1,0,0] neg_lo:[1,0,0] neg_hi:[1,0,0]
	v_pk_add_f16 v46, v47, v46
	v_pk_add_f16 v37, v40, v37
	v_pk_mul_f16 v40, v100, s10 op_sel_hi:[1,0]
	v_alignbit_b32 v47, s0, v45, 16
	v_pk_add_f16 v36, v45, v36
	v_pk_fma_f16 v45, v49, s18, v40 op_sel:[0,0,1] op_sel_hi:[1,0,0]
	v_pk_fma_f16 v40, v49, s18, v40 op_sel:[0,0,1] op_sel_hi:[1,0,0] neg_lo:[1,0,0] neg_hi:[1,0,0]
	v_pk_add_f16 v46, v47, v46
	v_pk_add_f16 v37, v40, v37
	v_pk_mul_f16 v40, v103, s14 op_sel_hi:[1,0]
	v_alignbit_b32 v47, s0, v45, 16
	v_pk_add_f16 v36, v45, v36
	v_pk_fma_f16 v45, v42, s13, v40 op_sel:[0,0,1] op_sel_hi:[1,0,0]
	v_pk_fma_f16 v40, v42, s13, v40 op_sel:[0,0,1] op_sel_hi:[1,0,0] neg_lo:[1,0,0] neg_hi:[1,0,0]
	v_add_f16_e32 v78, v78, v82
	v_pk_add_f16 v37, v40, v37
	v_pk_mul_f16 v40, v43, s8 op_sel_hi:[1,0]
	v_fma_f16 v82, v43, s10, -v109
	v_pk_add_f16 v46, v47, v46
	v_alignbit_b32 v47, s0, v45, 16
	v_pk_fma_f16 v42, v106, s9, v40 op_sel:[0,0,1] op_sel_hi:[1,0,0]
	v_add_f16_e32 v82, v82, v86
	v_fma_f16 v86, v43, s14, -v110
	v_pk_add_f16 v46, v47, v46
	v_pk_add_f16 v36, v45, v36
	v_alignbit_b32 v43, s0, v42, 16
	v_pk_fma_f16 v40, v106, s9, v40 op_sel:[0,0,1] op_sel_hi:[1,0,0] neg_lo:[1,0,0] neg_hi:[1,0,0]
	v_fma_f16 v80, v106, s18, v80
	v_fma_f16 v84, v106, s13, v84
	v_pk_add_f16 v43, v43, v46
	v_pk_add_f16 v37, v40, v37
	;; [unrolled: 1-line block ×3, first 2 shown]
	v_add_f16_e32 v80, v80, v88
	v_add_f16_e32 v86, v86, v90
	v_add_f16_e32 v84, v84, v92
	v_alignbit_b32 v36, v36, v37, 16
	v_pack_b32_f16 v37, v43, v37
	ds_write2_b32 v19, v37, v36 offset0:6 offset1:7
	v_pack_b32_f16 v36, v82, v80
	v_pack_b32_f16 v37, v86, v84
	ds_write2_b32 v19, v37, v36 offset0:8 offset1:9
	v_pack_b32_f16 v36, v44, v41
	;; [unrolled: 3-line block ×3, first 2 shown]
	ds_write_b32 v19, v36 offset:48
	s_waitcnt lgkmcnt(0)
	s_barrier
	ds_read2_b32 v[40:41], v54 offset1:68
	ds_read2_b32 v[36:37], v54 offset0:136 offset1:221
	ds_read2_b32 v[48:49], v23 offset0:186 offset1:254
	;; [unrolled: 1-line block ×5, first 2 shown]
	s_and_saveexec_b64 s[8:9], vcc
	s_cbranch_execz .LBB0_11
; %bb.10:
	v_add_u32_e32 v19, 0x680, v54
	ds_read_b32 v76, v50 offset:816
	ds_read2_b32 v[38:39], v19 offset0:9 offset1:230
	ds_read_b32 v27, v54 offset:3468
	s_waitcnt lgkmcnt(2)
	v_lshrrev_b32_e32 v77, 16, v76
	s_waitcnt lgkmcnt(1)
	v_lshrrev_b32_e32 v72, 16, v38
	v_lshrrev_b32_e32 v53, 16, v39
	s_waitcnt lgkmcnt(0)
	v_lshrrev_b32_e32 v31, 16, v27
.LBB0_11:
	s_or_b64 exec, exec, s[8:9]
	s_waitcnt lgkmcnt(4)
	v_lshrrev_b32_e32 v23, 16, v37
	v_mul_f16_sdwa v82, v20, v23 dst_sel:DWORD dst_unused:UNUSED_PAD src0_sel:WORD_1 src1_sel:DWORD
	s_waitcnt lgkmcnt(3)
	v_lshrrev_b32_e32 v67, 16, v48
	v_fma_f16 v82, v20, v37, v82
	v_mul_f16_sdwa v37, v20, v37 dst_sel:DWORD dst_unused:UNUSED_PAD src0_sel:WORD_1 src1_sel:DWORD
	s_waitcnt lgkmcnt(2)
	v_lshrrev_b32_e32 v68, 16, v43
	v_fma_f16 v20, v20, v23, -v37
	v_mul_f16_sdwa v23, v21, v67 dst_sel:DWORD dst_unused:UNUSED_PAD src0_sel:WORD_1 src1_sel:DWORD
	v_mul_f16_sdwa v37, v21, v48 dst_sel:DWORD dst_unused:UNUSED_PAD src0_sel:WORD_1 src1_sel:DWORD
	v_fma_f16 v23, v21, v48, v23
	v_fma_f16 v21, v21, v67, -v37
	v_mul_f16_sdwa v37, v22, v68 dst_sel:DWORD dst_unused:UNUSED_PAD src0_sel:WORD_1 src1_sel:DWORD
	s_waitcnt lgkmcnt(1)
	v_lshrrev_b32_e32 v73, 16, v46
	v_fma_f16 v37, v22, v43, v37
	v_mul_f16_sdwa v43, v22, v43 dst_sel:DWORD dst_unused:UNUSED_PAD src0_sel:WORD_1 src1_sel:DWORD
	v_fma_f16 v22, v22, v68, -v43
	v_mul_f16_sdwa v43, v16, v73 dst_sel:DWORD dst_unused:UNUSED_PAD src0_sel:WORD_1 src1_sel:DWORD
	v_lshrrev_b32_e32 v74, 16, v49
	v_fma_f16 v48, v16, v46, v43
	v_mul_f16_sdwa v43, v16, v46 dst_sel:DWORD dst_unused:UNUSED_PAD src0_sel:WORD_1 src1_sel:DWORD
	v_fma_f16 v46, v16, v73, -v43
	v_mul_f16_sdwa v16, v17, v74 dst_sel:DWORD dst_unused:UNUSED_PAD src0_sel:WORD_1 src1_sel:DWORD
	s_waitcnt lgkmcnt(0)
	v_lshrrev_b32_e32 v75, 16, v44
	v_fma_f16 v67, v17, v49, v16
	v_mul_f16_sdwa v16, v17, v49 dst_sel:DWORD dst_unused:UNUSED_PAD src0_sel:WORD_1 src1_sel:DWORD
	v_fma_f16 v49, v17, v74, -v16
	v_mul_f16_sdwa v16, v18, v75 dst_sel:DWORD dst_unused:UNUSED_PAD src0_sel:WORD_1 src1_sel:DWORD
	v_lshrrev_b32_e32 v79, 16, v47
	v_fma_f16 v68, v18, v44, v16
	v_mul_f16_sdwa v16, v18, v44 dst_sel:DWORD dst_unused:UNUSED_PAD src0_sel:WORD_1 src1_sel:DWORD
	v_fma_f16 v18, v18, v75, -v16
	v_mul_f16_sdwa v16, v28, v79 dst_sel:DWORD dst_unused:UNUSED_PAD src0_sel:WORD_1 src1_sel:DWORD
	;; [unrolled: 5-line block ×4, first 2 shown]
	v_fma_f16 v79, v30, v45, v16
	v_mul_f16_sdwa v16, v30, v45 dst_sel:DWORD dst_unused:UNUSED_PAD src0_sel:WORD_1 src1_sel:DWORD
	v_fma_f16 v30, v30, v81, -v16
	v_mul_f16_sdwa v16, v24, v72 dst_sel:DWORD dst_unused:UNUSED_PAD src0_sel:WORD_1 src1_sel:DWORD
	v_fma_f16 v45, v24, v38, v16
	v_mul_f16_sdwa v16, v24, v38 dst_sel:DWORD dst_unused:UNUSED_PAD src0_sel:WORD_1 src1_sel:DWORD
	v_fma_f16 v38, v24, v72, -v16
	v_mul_f16_sdwa v16, v25, v53 dst_sel:DWORD dst_unused:UNUSED_PAD src0_sel:WORD_1 src1_sel:DWORD
	v_lshrrev_b32_e32 v19, 16, v40
	v_fma_f16 v72, v25, v39, v16
	v_mul_f16_sdwa v16, v25, v39 dst_sel:DWORD dst_unused:UNUSED_PAD src0_sel:WORD_1 src1_sel:DWORD
	v_fma_f16 v39, v25, v53, -v16
	v_mul_f16_sdwa v16, v26, v31 dst_sel:DWORD dst_unused:UNUSED_PAD src0_sel:WORD_1 src1_sel:DWORD
	v_sub_f16_e32 v21, v19, v21
	v_sub_f16_e32 v22, v20, v22
	v_fma_f16 v53, v26, v27, v16
	v_mul_f16_sdwa v16, v26, v27 dst_sel:DWORD dst_unused:UNUSED_PAD src0_sel:WORD_1 src1_sel:DWORD
	v_sub_f16_e32 v17, v40, v23
	v_fma_f16 v19, v19, 2.0, -v21
	v_sub_f16_e32 v23, v82, v37
	v_fma_f16 v20, v20, 2.0, -v22
	v_lshrrev_b32_e32 v69, 16, v41
	v_fma_f16 v31, v26, v31, -v16
	v_sub_f16_e32 v42, v19, v20
	v_sub_f16_e32 v43, v21, v23
	;; [unrolled: 1-line block ×4, first 2 shown]
	v_fma_f16 v16, v40, 2.0, -v17
	v_fma_f16 v37, v19, 2.0, -v42
	;; [unrolled: 1-line block ×3, first 2 shown]
	v_sub_f16_e32 v21, v69, v49
	v_fma_f16 v19, v41, 2.0, -v20
	v_sub_f16_e32 v27, v46, v18
	v_fma_f16 v18, v48, 2.0, -v26
	v_fma_f16 v24, v82, 2.0, -v23
	v_add_f16_e32 v25, v17, v22
	v_fma_f16 v23, v69, 2.0, -v21
	v_fma_f16 v22, v46, 2.0, -v27
	v_sub_f16_e32 v18, v19, v18
	v_sub_f16_e32 v73, v21, v26
	v_lshrrev_b32_e32 v78, 16, v36
	v_sub_f16_e32 v74, v23, v22
	v_fma_f16 v22, v19, 2.0, -v18
	v_add_f16_e32 v19, v20, v27
	v_fma_f16 v46, v21, 2.0, -v73
	v_sub_f16_e32 v21, v36, v47
	v_fma_f16 v44, v23, 2.0, -v74
	v_fma_f16 v23, v20, 2.0, -v19
	v_sub_f16_e32 v29, v78, v29
	v_fma_f16 v20, v36, 2.0, -v21
	v_sub_f16_e32 v36, v75, v79
	v_sub_f16_e32 v24, v16, v24
	v_fma_f16 v27, v78, 2.0, -v29
	v_sub_f16_e32 v30, v28, v30
	v_fma_f16 v26, v75, 2.0, -v36
	v_sub_f16_e32 v78, v29, v36
	v_sub_f16_e32 v36, v77, v39
	;; [unrolled: 1-line block ×4, first 2 shown]
	v_fma_f16 v16, v16, 2.0, -v24
	v_fma_f16 v17, v17, 2.0, -v25
	;; [unrolled: 1-line block ×4, first 2 shown]
	v_sub_f16_e32 v29, v76, v72
	v_fma_f16 v39, v77, 2.0, -v36
	v_fma_f16 v38, v38, 2.0, -v31
	v_sub_f16_e32 v47, v36, v41
	v_sub_f16_e32 v81, v27, v28
	v_fma_f16 v28, v76, 2.0, -v29
	v_sub_f16_e32 v49, v39, v38
	v_fma_f16 v76, v36, 2.0, -v47
	v_pack_b32_f16 v36, v16, v37
	v_pack_b32_f16 v38, v17, v40
	s_barrier
	ds_write2_b32 v173, v36, v38 offset1:13
	v_pack_b32_f16 v36, v24, v42
	v_pack_b32_f16 v38, v25, v43
	v_sub_f16_e32 v26, v20, v26
	v_fma_f16 v75, v27, 2.0, -v81
	v_add_f16_e32 v27, v21, v30
	ds_write2_b32 v173, v36, v38 offset0:26 offset1:39
	v_pack_b32_f16 v36, v22, v44
	v_pack_b32_f16 v38, v23, v46
	v_fma_f16 v20, v20, 2.0, -v26
	v_fma_f16 v21, v21, 2.0, -v27
	;; [unrolled: 1-line block ×3, first 2 shown]
	ds_write2_b32 v70, v36, v38 offset1:13
	v_pack_b32_f16 v36, v18, v74
	v_pack_b32_f16 v38, v19, v73
	v_sub_f16_e32 v30, v28, v30
	v_add_f16_e32 v31, v29, v31
	ds_write2_b32 v70, v36, v38 offset0:26 offset1:39
	v_pack_b32_f16 v36, v20, v75
	v_pack_b32_f16 v38, v21, v79
	v_fma_f16 v28, v28, 2.0, -v30
	v_fma_f16 v48, v39, 2.0, -v49
	;; [unrolled: 1-line block ×3, first 2 shown]
	ds_write2_b32 v71, v36, v38 offset1:13
	v_pack_b32_f16 v36, v26, v81
	v_pack_b32_f16 v38, v27, v78
	ds_write2_b32 v71, v36, v38 offset0:26 offset1:39
	s_and_saveexec_b64 s[8:9], vcc
	s_cbranch_execz .LBB0_13
; %bb.12:
	v_mad_legacy_u16 v36, v171, 52, v172
	s_mov_b32 s10, 0x5040100
	v_lshl_add_u32 v36, v36, 2, v66
	v_perm_b32 v38, v48, v28, s10
	v_perm_b32 v39, v76, v29, s10
	ds_write2_b32 v36, v38, v39 offset1:13
	v_perm_b32 v38, v49, v30, s10
	v_perm_b32 v39, v47, v31, s10
	ds_write2_b32 v36, v38, v39 offset0:26 offset1:39
.LBB0_13:
	s_or_b64 exec, exec, s[8:9]
	s_waitcnt lgkmcnt(0)
	s_barrier
	s_and_saveexec_b64 s[8:9], s[0:1]
	s_cbranch_execz .LBB0_15
; %bb.14:
	v_add_u32_e32 v18, 0x200, v54
	v_add_u32_e32 v20, 0x400, v54
	;; [unrolled: 1-line block ×4, first 2 shown]
	ds_read2_b32 v[16:17], v54 offset1:52
	ds_read2_b32 v[24:25], v54 offset0:104 offset1:156
	ds_read2_b32 v[22:23], v18 offset0:80 offset1:132
	ds_read2_b32 v[18:19], v20 offset0:56 offset1:108
	ds_read2_b32 v[20:21], v20 offset0:160 offset1:212
	ds_read2_b32 v[26:27], v28 offset0:8 offset1:60
	ds_read2_b32 v[28:29], v28 offset0:112 offset1:164
	ds_read2_b32 v[30:31], v30 offset0:88 offset1:140
	ds_read_b32 v51, v54 offset:3328
	s_waitcnt lgkmcnt(8)
	v_lshrrev_b32_e32 v37, 16, v16
	v_lshrrev_b32_e32 v40, 16, v17
	s_waitcnt lgkmcnt(7)
	v_lshrrev_b32_e32 v42, 16, v24
	v_lshrrev_b32_e32 v43, 16, v25
	;; [unrolled: 3-line block ×8, first 2 shown]
	s_waitcnt lgkmcnt(0)
	v_lshrrev_b32_e32 v52, 16, v51
.LBB0_15:
	s_or_b64 exec, exec, s[8:9]
	s_and_saveexec_b64 s[8:9], s[0:1]
	s_cbranch_execz .LBB0_17
; %bb.16:
	v_mul_f16_sdwa v36, v8, v40 dst_sel:DWORD dst_unused:UNUSED_PAD src0_sel:WORD_1 src1_sel:DWORD
	v_fma_f16 v39, v8, v17, v36
	v_mul_f16_sdwa v36, v15, v52 dst_sel:DWORD dst_unused:UNUSED_PAD src0_sel:WORD_1 src1_sel:DWORD
	v_fma_f16 v38, v15, v51, v36
	v_mul_f16_sdwa v41, v15, v51 dst_sel:DWORD dst_unused:UNUSED_PAD src0_sel:WORD_1 src1_sel:DWORD
	v_mul_f16_sdwa v17, v8, v17 dst_sel:DWORD dst_unused:UNUSED_PAD src0_sel:WORD_1 src1_sel:DWORD
	v_sub_f16_e32 v36, v39, v38
	v_fma_f16 v15, v15, v52, -v41
	v_fma_f16 v17, v8, v40, -v17
	v_mul_f16_e32 v53, 0xb964, v36
	v_add_f16_e32 v45, v15, v17
	s_movk_i32 s0, 0x39e9
	v_fma_f16 v8, v45, s0, v53
	v_add_f16_e32 v51, v37, v8
	v_mul_f16_sdwa v8, v9, v42 dst_sel:DWORD dst_unused:UNUSED_PAD src0_sel:WORD_1 src1_sel:DWORD
	v_fma_f16 v41, v9, v24, v8
	v_mul_f16_sdwa v8, v14, v47 dst_sel:DWORD dst_unused:UNUSED_PAD src0_sel:WORD_1 src1_sel:DWORD
	v_fma_f16 v40, v14, v31, v8
	v_mul_f16_sdwa v31, v14, v31 dst_sel:DWORD dst_unused:UNUSED_PAD src0_sel:WORD_1 src1_sel:DWORD
	v_mul_f16_sdwa v24, v9, v24 dst_sel:DWORD dst_unused:UNUSED_PAD src0_sel:WORD_1 src1_sel:DWORD
	v_sub_f16_e32 v8, v41, v40
	v_fma_f16 v14, v14, v47, -v31
	v_fma_f16 v24, v9, v42, -v24
	v_mul_f16_e32 v72, 0xbbf7, v8
	v_add_f16_e32 v47, v14, v24
	s_movk_i32 s10, 0x2de8
	v_fma_f16 v9, v47, s10, v72
	v_add_f16_e32 v51, v9, v51
	v_mul_f16_sdwa v9, v10, v43 dst_sel:DWORD dst_unused:UNUSED_PAD src0_sel:WORD_1 src1_sel:DWORD
	v_fma_f16 v42, v10, v25, v9
	v_mul_f16_sdwa v9, v13, v49 dst_sel:DWORD dst_unused:UNUSED_PAD src0_sel:WORD_1 src1_sel:DWORD
	v_fma_f16 v31, v13, v30, v9
	v_mul_f16_sdwa v30, v13, v30 dst_sel:DWORD dst_unused:UNUSED_PAD src0_sel:WORD_1 src1_sel:DWORD
	v_mul_f16_sdwa v25, v10, v25 dst_sel:DWORD dst_unused:UNUSED_PAD src0_sel:WORD_1 src1_sel:DWORD
	v_sub_f16_e32 v9, v42, v31
	v_fma_f16 v13, v13, v49, -v30
	v_fma_f16 v25, v10, v43, -v25
	v_mul_f16_e32 v77, 0xba62, v9
	v_add_f16_e32 v49, v13, v25
	s_mov_b32 s12, 0xb8d2
	v_fma_f16 v10, v49, s12, v77
	v_add_f16_e32 v51, v10, v51
	v_mul_f16_sdwa v10, v11, v44 dst_sel:DWORD dst_unused:UNUSED_PAD src0_sel:WORD_1 src1_sel:DWORD
	v_fma_f16 v43, v11, v22, v10
	v_mul_f16_sdwa v10, v12, v76 dst_sel:DWORD dst_unused:UNUSED_PAD src0_sel:WORD_1 src1_sel:DWORD
	v_fma_f16 v30, v12, v29, v10
	v_mul_f16_sdwa v29, v12, v29 dst_sel:DWORD dst_unused:UNUSED_PAD src0_sel:WORD_1 src1_sel:DWORD
	v_mul_f16_sdwa v22, v11, v22 dst_sel:DWORD dst_unused:UNUSED_PAD src0_sel:WORD_1 src1_sel:DWORD
	v_sub_f16_e32 v10, v43, v30
	v_fma_f16 v12, v12, v76, -v29
	v_fma_f16 v22, v11, v44, -v22
	v_mul_f16_e32 v80, 0xb1e1, v10
	v_add_f16_e32 v71, v12, v22
	s_mov_b32 s14, 0xbbdd
	v_fma_f16 v11, v71, s14, v80
	v_add_f16_e32 v51, v11, v51
	v_mul_f16_sdwa v11, v0, v46 dst_sel:DWORD dst_unused:UNUSED_PAD src0_sel:WORD_1 src1_sel:DWORD
	v_fma_f16 v44, v0, v23, v11
	v_mul_f16_sdwa v11, v7, v48 dst_sel:DWORD dst_unused:UNUSED_PAD src0_sel:WORD_1 src1_sel:DWORD
	v_fma_f16 v29, v7, v28, v11
	v_mul_f16_sdwa v28, v7, v28 dst_sel:DWORD dst_unused:UNUSED_PAD src0_sel:WORD_1 src1_sel:DWORD
	v_fma_f16 v28, v7, v48, -v28
	v_mul_f16_sdwa v7, v0, v23 dst_sel:DWORD dst_unused:UNUSED_PAD src0_sel:WORD_1 src1_sel:DWORD
	v_fma_f16 v23, v0, v46, -v7
	v_mul_f16_sdwa v7, v1, v74 dst_sel:DWORD dst_unused:UNUSED_PAD src0_sel:WORD_1 src1_sel:DWORD
	v_fma_f16 v48, v1, v18, v7
	v_mul_f16_sdwa v7, v6, v78 dst_sel:DWORD dst_unused:UNUSED_PAD src0_sel:WORD_1 src1_sel:DWORD
	v_sub_f16_e32 v11, v44, v29
	v_fma_f16 v46, v6, v27, v7
	v_mul_f16_sdwa v27, v6, v27 dst_sel:DWORD dst_unused:UNUSED_PAD src0_sel:WORD_1 src1_sel:DWORD
	v_mul_f16_sdwa v18, v1, v18 dst_sel:DWORD dst_unused:UNUSED_PAD src0_sel:WORD_1 src1_sel:DWORD
	v_mul_f16_e32 v82, 0x3836, v11
	v_add_f16_e32 v76, v28, v23
	s_mov_b32 s16, 0xbacd
	v_sub_f16_e32 v7, v48, v46
	v_fma_f16 v6, v6, v78, -v27
	v_fma_f16 v18, v1, v74, -v18
	v_fma_f16 v0, v76, s16, v82
	v_mul_f16_e32 v88, 0x3bb2, v7
	v_add_f16_e32 v78, v6, v18
	s_mov_b32 s17, 0xb461
	v_add_f16_e32 v0, v0, v51
	v_fma_f16 v1, v78, s17, v88
	v_add_f16_e32 v0, v1, v0
	v_mul_f16_sdwa v1, v2, v73 dst_sel:DWORD dst_unused:UNUSED_PAD src0_sel:WORD_1 src1_sel:DWORD
	v_fma_f16 v52, v2, v19, v1
	v_mul_f16_sdwa v1, v5, v81 dst_sel:DWORD dst_unused:UNUSED_PAD src0_sel:WORD_1 src1_sel:DWORD
	v_fma_f16 v27, v5, v26, v1
	v_mul_f16_sdwa v26, v5, v26 dst_sel:DWORD dst_unused:UNUSED_PAD src0_sel:WORD_1 src1_sel:DWORD
	v_mul_f16_sdwa v19, v2, v19 dst_sel:DWORD dst_unused:UNUSED_PAD src0_sel:WORD_1 src1_sel:DWORD
	v_sub_f16_e32 v1, v52, v27
	v_fma_f16 v5, v5, v81, -v26
	v_fma_f16 v26, v2, v73, -v19
	v_mul_f16_e32 v94, 0x3b29, v1
	v_add_f16_e32 v81, v5, v26
	s_movk_i32 s18, 0x3722
	v_fma_f16 v2, v81, s18, v94
	v_add_f16_e32 v0, v2, v0
	v_mul_f16_sdwa v2, v3, v75 dst_sel:DWORD dst_unused:UNUSED_PAD src0_sel:WORD_1 src1_sel:DWORD
	v_fma_f16 v73, v3, v20, v2
	v_mul_f16_sdwa v2, v4, v79 dst_sel:DWORD dst_unused:UNUSED_PAD src0_sel:WORD_1 src1_sel:DWORD
	v_mul_f16_sdwa v19, v4, v21 dst_sel:DWORD dst_unused:UNUSED_PAD src0_sel:WORD_1 src1_sel:DWORD
	v_fma_f16 v74, v4, v21, v2
	v_fma_f16 v67, v4, v79, -v19
	v_mul_f16_sdwa v4, v3, v20 dst_sel:DWORD dst_unused:UNUSED_PAD src0_sel:WORD_1 src1_sel:DWORD
	v_sub_f16_e32 v2, v73, v74
	v_fma_f16 v69, v3, v75, -v4
	v_mul_f16_e32 v96, 0x35c8, v2
	v_add_f16_e32 v83, v67, v69
	s_movk_i32 s19, 0x3b76
	v_sub_f16_e32 v84, v17, v15
	v_fma_f16 v3, v83, s19, v96
	v_add_f16_e32 v4, v38, v39
	v_mul_f16_e32 v97, 0xb964, v84
	v_sub_f16_e32 v85, v24, v14
	v_add_f16_e32 v0, v3, v0
	v_fma_f16 v3, v4, s0, -v97
	v_add_f16_e32 v19, v40, v41
	v_mul_f16_e32 v98, 0xbbf7, v85
	v_add_f16_e32 v3, v16, v3
	v_fma_f16 v20, v19, s10, -v98
	v_sub_f16_e32 v86, v25, v13
	v_add_f16_e32 v3, v20, v3
	v_add_f16_e32 v20, v31, v42
	v_mul_f16_e32 v99, 0xba62, v86
	v_fma_f16 v21, v20, s12, -v99
	v_sub_f16_e32 v89, v22, v12
	v_add_f16_e32 v3, v21, v3
	v_add_f16_e32 v21, v30, v43
	v_mul_f16_e32 v100, 0xb1e1, v89
	;; [unrolled: 5-line block ×6, first 2 shown]
	v_fma_f16 v75, v70, s19, -v105
	v_mul_f16_e32 v106, 0xbb29, v36
	v_add_f16_e32 v3, v75, v3
	v_fma_f16 v75, v45, s18, v106
	v_mul_f16_e32 v107, 0xba62, v8
	v_add_f16_e32 v75, v37, v75
	v_fma_f16 v79, v47, s12, v107
	v_mul_f16_e32 v108, 0x31e1, v9
	v_add_f16_e32 v75, v79, v75
	v_fma_f16 v79, v49, s14, v108
	v_mul_f16_e32 v109, 0x3bb2, v10
	v_add_f16_e32 v75, v79, v75
	v_fma_f16 v79, v71, s17, v109
	v_mul_f16_e32 v110, 0x3964, v11
	v_add_f16_e32 v75, v79, v75
	v_fma_f16 v79, v76, s0, v110
	v_mul_f16_e32 v111, 0xb5c8, v7
	v_add_f16_e32 v75, v79, v75
	v_fma_f16 v79, v78, s19, v111
	v_mul_f16_e32 v112, 0xbbf7, v1
	v_add_f16_e32 v75, v79, v75
	v_fma_f16 v79, v81, s10, v112
	v_mul_f16_e32 v113, 0xb836, v2
	v_add_f16_e32 v75, v79, v75
	v_fma_f16 v79, v83, s16, v113
	v_mul_f16_e32 v114, 0xbb29, v84
	v_add_f16_e32 v75, v79, v75
	v_fma_f16 v79, v4, s18, -v114
	v_mul_f16_e32 v115, 0xba62, v85
	v_add_f16_e32 v79, v16, v79
	v_fma_f16 v87, v19, s12, -v115
	;; [unrolled: 3-line block ×8, first 2 shown]
	v_mul_f16_e32 v122, 0xbbf7, v36
	v_add_f16_e32 v79, v87, v79
	v_fma_f16 v87, v45, s10, v122
	v_mul_f16_e32 v123, 0xb1e1, v8
	v_add_f16_e32 v87, v37, v87
	v_fma_f16 v95, v47, s14, v123
	;; [unrolled: 3-line block ×8, first 2 shown]
	v_mul_f16_e32 v130, 0xbbf7, v84
	v_add_f16_e32 v87, v95, v87
	v_fma_f16 v95, v4, s10, -v130
	v_mul_f16_e32 v131, 0xb1e1, v85
	v_add_f16_e32 v95, v16, v95
	v_fma_f16 v103, v19, s14, -v131
	v_mul_f16_e32 v132, 0x3bb2, v86
	v_add_f16_e32 v95, v103, v95
	v_fma_f16 v103, v20, s17, -v132
	v_mul_f16_e32 v133, 0x35c8, v89
	v_add_f16_e32 v95, v103, v95
	v_fma_f16 v103, v21, s19, -v133
	v_mul_f16_e32 v134, 0xbb29, v90
	v_add_f16_e32 v95, v103, v95
	v_fma_f16 v103, v51, s18, -v134
	v_mul_f16_e32 v135, 0xb836, v91
	v_add_f16_e32 v95, v103, v95
	v_fma_f16 v103, v66, s16, -v135
	v_mul_f16_e32 v136, 0x3a62, v92
	v_add_f16_e32 v95, v103, v95
	v_fma_f16 v103, v68, s12, -v136
	v_mul_f16_e32 v137, 0x3964, v93
	v_add_f16_e32 v95, v103, v95
	v_fma_f16 v103, v70, s0, -v137
	v_mul_f16_e32 v138, 0xbbb2, v36
	v_add_f16_e32 v95, v103, v95
	v_fma_f16 v103, v45, s17, v138
	v_mul_f16_e32 v139, 0x3836, v8
	v_add_f16_e32 v103, v37, v103
	v_fma_f16 v140, v47, s16, v139
	v_add_f16_e32 v103, v140, v103
	v_mul_f16_e32 v140, 0x3964, v9
	v_fma_f16 v141, v49, s0, v140
	v_add_f16_e32 v103, v141, v103
	v_mul_f16_e32 v141, 0xbb29, v10
	;; [unrolled: 3-line block ×7, first 2 shown]
	v_fma_f16 v147, v4, s17, -v146
	v_mul_f16_e32 v148, 0x3836, v85
	v_add_f16_e32 v147, v16, v147
	v_fma_f16 v149, v19, s16, -v148
	v_add_f16_e32 v147, v149, v147
	v_mul_f16_e32 v149, 0x3964, v86
	v_fma_f16 v150, v20, s0, -v149
	v_add_f16_e32 v147, v150, v147
	v_mul_f16_e32 v150, 0xbb29, v89
	;; [unrolled: 3-line block ×7, first 2 shown]
	v_fma_f16 v156, v45, s12, v155
	v_mul_f16_e32 v157, 0x3bb2, v8
	v_add_f16_e32 v156, v37, v156
	v_fma_f16 v158, v47, s17, v157
	v_add_f16_e32 v156, v158, v156
	v_mul_f16_e32 v158, 0xb5c8, v9
	v_fma_f16 v159, v49, s19, v158
	v_add_f16_e32 v156, v159, v156
	v_mul_f16_e32 v159, 0xb836, v10
	;; [unrolled: 3-line block ×7, first 2 shown]
	v_fma_f16 v165, v4, s12, -v164
	v_mul_f16_e32 v166, 0x3bb2, v85
	v_add_f16_e32 v165, v16, v165
	v_fma_f16 v167, v19, s17, -v166
	v_add_f16_e32 v165, v167, v165
	v_mul_f16_e32 v167, 0xb5c8, v86
	v_fma_f16 v168, v20, s19, -v167
	v_add_f16_e32 v165, v168, v165
	v_mul_f16_e32 v168, 0xb836, v89
	;; [unrolled: 3-line block ×7, first 2 shown]
	v_fma_f16 v174, v45, s16, v173
	v_mul_f16_e32 v175, 0x3b29, v8
	v_add_f16_e32 v174, v37, v174
	v_fma_f16 v176, v47, s18, v175
	v_add_f16_e32 v174, v176, v174
	v_mul_f16_e32 v176, 0xbbf7, v9
	v_fma_f16 v177, v49, s10, v176
	v_add_f16_e32 v174, v177, v174
	v_mul_f16_e32 v177, 0x3a62, v10
	;; [unrolled: 3-line block ×7, first 2 shown]
	v_fma_f16 v183, v4, s16, -v182
	v_mul_f16_e32 v184, 0x3b29, v85
	v_add_f16_e32 v183, v16, v183
	v_fma_f16 v185, v19, s18, -v184
	v_add_f16_e32 v183, v185, v183
	v_mul_f16_e32 v185, 0xbbf7, v86
	v_fma_f16 v186, v20, s10, -v185
	v_add_f16_e32 v183, v186, v183
	v_mul_f16_e32 v186, 0x3a62, v89
	v_fma_f16 v53, v45, s0, -v53
	v_fma_f16 v187, v21, s12, -v186
	v_add_f16_e32 v53, v37, v53
	v_fma_f16 v72, v47, s10, -v72
	v_add_f16_e32 v183, v187, v183
	v_mul_f16_e32 v187, 0xb5c8, v90
	v_add_f16_e32 v53, v72, v53
	v_fma_f16 v72, v49, s12, -v77
	v_fma_f16 v188, v51, s19, -v187
	v_add_f16_e32 v53, v72, v53
	v_fma_f16 v72, v71, s14, -v80
	v_add_f16_e32 v183, v188, v183
	v_mul_f16_e32 v188, 0xb1e1, v91
	v_add_f16_e32 v53, v72, v53
	;; [unrolled: 7-line block ×4, first 2 shown]
	v_fma_f16 v72, v4, s0, v97
	v_fma_f16 v191, v70, s17, -v190
	v_add_f16_e32 v72, v16, v72
	v_fma_f16 v77, v19, s10, v98
	v_add_f16_e32 v183, v191, v183
	v_mul_f16_e32 v191, 0xb1e1, v36
	v_add_f16_e32 v72, v77, v72
	v_fma_f16 v77, v20, s12, v99
	v_fma_f16 v192, v45, s14, v191
	v_mul_f16_e32 v193, 0x35c8, v8
	v_add_f16_e32 v72, v77, v72
	v_fma_f16 v77, v21, s14, v100
	v_add_f16_e32 v192, v37, v192
	v_fma_f16 v194, v47, s19, v193
	;; [unrolled: 2-line block ×3, first 2 shown]
	v_add_f16_e32 v192, v194, v192
	v_mul_f16_e32 v194, 0xb836, v9
	v_add_f16_e32 v72, v77, v72
	v_fma_f16 v77, v66, s17, v102
	v_fma_f16 v195, v49, s16, v194
	v_add_f16_e32 v72, v77, v72
	v_fma_f16 v77, v68, s18, v104
	s_movk_i32 s26, 0x35c8
	v_add_f16_e32 v192, v195, v192
	v_mul_f16_e32 v195, 0x3964, v10
	v_fma_f16 v191, v45, s14, -v191
	v_fma_f16 v173, v45, s16, -v173
	;; [unrolled: 1-line block ×6, first 2 shown]
	v_add_f16_e32 v72, v77, v72
	v_fma_f16 v77, v70, s19, v105
	v_mul_f16_e32 v45, 0x3b76, v45
	v_add_f16_e32 v17, v17, v37
	s_movk_i32 s28, 0x3964
	v_fma_f16 v196, v71, s0, v195
	v_add_f16_e32 v191, v37, v191
	v_fma_f16 v193, v47, s19, -v193
	v_add_f16_e32 v173, v37, v173
	v_fma_f16 v175, v47, s18, -v175
	;; [unrolled: 2-line block ×6, first 2 shown]
	v_add_f16_e32 v72, v77, v72
	v_fma_f16 v77, v36, s26, v45
	v_mul_f16_e32 v47, 0x39e9, v47
	v_add_f16_e32 v17, v24, v17
	s_movk_i32 s23, 0x3b29
	v_add_f16_e32 v192, v196, v192
	v_mul_f16_e32 v196, 0xba62, v11
	v_add_f16_e32 v191, v193, v191
	v_fma_f16 v193, v49, s16, -v194
	v_add_f16_e32 v173, v175, v173
	v_fma_f16 v175, v49, s10, -v176
	v_add_f16_e32 v155, v157, v155
	v_fma_f16 v157, v49, s19, -v158
	v_add_f16_e32 v138, v139, v138
	v_fma_f16 v139, v49, s0, -v140
	v_add_f16_e32 v122, v123, v122
	v_fma_f16 v123, v49, s17, -v124
	v_add_f16_e32 v106, v107, v106
	v_fma_f16 v107, v49, s14, -v108
	v_add_f16_e32 v77, v37, v77
	v_fma_f16 v80, v8, s28, v47
	v_mul_f16_e32 v49, 0x3722, v49
	v_add_f16_e32 v17, v25, v17
	s_movk_i32 s31, 0x3bf7
	v_fma_f16 v197, v76, s12, v196
	v_add_f16_e32 v191, v193, v191
	v_fma_f16 v193, v71, s0, -v195
	v_add_f16_e32 v173, v175, v173
	v_fma_f16 v175, v71, s12, -v177
	;; [unrolled: 2-line block ×6, first 2 shown]
	v_add_f16_e32 v77, v80, v77
	v_fma_f16 v80, v9, s23, v49
	v_mul_f16_e32 v71, 0x2de8, v71
	v_add_f16_e32 v17, v22, v17
	s_movk_i32 s21, 0x3bb2
	v_add_f16_e32 v192, v197, v192
	v_mul_f16_e32 v197, 0x3b29, v7
	v_add_f16_e32 v191, v193, v191
	v_fma_f16 v193, v76, s12, -v196
	v_add_f16_e32 v173, v175, v173
	v_fma_f16 v175, v76, s19, -v178
	;; [unrolled: 2-line block ×6, first 2 shown]
	v_add_f16_e32 v77, v80, v77
	v_fma_f16 v80, v10, s31, v71
	v_mul_f16_e32 v76, 0xb461, v76
	v_add_f16_e32 v17, v23, v17
	s_movk_i32 s30, 0x3a62
	v_fma_f16 v198, v78, s18, v197
	v_add_f16_e32 v191, v193, v191
	v_fma_f16 v193, v78, s18, -v197
	v_add_f16_e32 v173, v175, v173
	v_fma_f16 v175, v78, s14, -v179
	v_add_f16_e32 v155, v157, v155
	v_fma_f16 v157, v78, s0, -v161
	v_add_f16_e32 v138, v139, v138
	v_fma_f16 v139, v78, s10, -v143
	v_add_f16_e32 v122, v123, v122
	v_fma_f16 v123, v78, s16, -v127
	v_add_f16_e32 v106, v107, v106
	v_fma_f16 v107, v78, s19, -v111
	v_add_f16_e32 v77, v80, v77
	v_fma_f16 v80, v11, s21, v76
	v_mul_f16_e32 v78, 0xb8d2, v78
	v_add_f16_e32 v17, v18, v17
	v_add_f16_e32 v77, v80, v77
	v_fma_f16 v80, v7, s30, v78
	v_add_f16_e32 v17, v26, v17
	s_movk_i32 s20, 0x3836
	v_add_f16_e32 v192, v198, v192
	v_mul_f16_e32 v198, 0xbbb2, v1
	v_add_f16_e32 v77, v80, v77
	v_mul_f16_e32 v80, 0xbacd, v81
	v_add_f16_e32 v17, v69, v17
	v_fma_f16 v199, v81, s17, v198
	v_add_f16_e32 v191, v193, v191
	v_fma_f16 v193, v81, s17, -v198
	v_add_f16_e32 v173, v175, v173
	v_fma_f16 v175, v81, s0, -v180
	;; [unrolled: 2-line block ×6, first 2 shown]
	v_fma_f16 v81, v1, s20, v80
	v_add_f16_e32 v17, v67, v17
	s_movk_i32 s27, 0x31e1
	s_mov_b32 s25, 0xb5c8
	v_add_f16_e32 v77, v81, v77
	v_mul_f16_e32 v81, 0xbbdd, v83
	v_add_f16_e32 v5, v5, v17
	s_mov_b32 s1, 0xb964
	v_add_f16_e32 v192, v199, v192
	v_mul_f16_e32 v199, 0x3bf7, v2
	v_fma_f16 v82, v2, s27, v81
	v_add_f16_e32 v39, v16, v39
	v_add_f16_e32 v5, v6, v5
	v_fma_f16 v6, v36, s25, v45
	s_mov_b32 s22, 0xbb29
	v_fma_f16 v200, v83, s10, v199
	v_add_f16_e32 v77, v82, v77
	v_mul_f16_e32 v82, 0xb5c8, v84
	v_add_f16_e32 v39, v41, v39
	v_add_f16_e32 v6, v37, v6
	v_fma_f16 v8, v8, s1, v47
	s_mov_b32 s11, 0xbbf7
	v_add_f16_e32 v192, v200, v192
	v_mul_f16_e32 v200, 0xb1e1, v84
	v_add_f16_e32 v191, v193, v191
	v_fma_f16 v193, v83, s10, -v199
	v_add_f16_e32 v173, v175, v173
	v_fma_f16 v175, v83, s17, -v181
	;; [unrolled: 2-line block ×6, first 2 shown]
	v_fma_f16 v83, v4, s19, v82
	v_mul_f16_e32 v84, 0xb964, v85
	v_add_f16_e32 v39, v42, v39
	v_add_f16_e32 v6, v8, v6
	v_fma_f16 v8, v9, s22, v49
	s_mov_b32 s29, 0xbbb2
	v_fma_f16 v201, v4, s14, -v200
	v_mul_f16_e32 v202, 0x35c8, v85
	v_add_f16_e32 v83, v16, v83
	v_fma_f16 v85, v19, s0, v84
	v_add_f16_e32 v39, v43, v39
	v_add_f16_e32 v6, v8, v6
	v_fma_f16 v8, v10, s11, v71
	s_mov_b32 s13, 0xba62
	v_add_f16_e32 v201, v16, v201
	v_fma_f16 v203, v19, s19, -v202
	v_add_f16_e32 v83, v85, v83
	v_mul_f16_e32 v85, 0xbb29, v86
	v_add_f16_e32 v39, v44, v39
	v_add_f16_e32 v6, v8, v6
	v_fma_f16 v8, v11, s29, v76
	s_mov_b32 s24, 0xb836
	v_add_f16_e32 v201, v203, v201
	v_mul_f16_e32 v203, 0xb836, v86
	v_fma_f16 v86, v20, s18, v85
	v_add_f16_e32 v39, v48, v39
	v_add_f16_e32 v6, v8, v6
	v_fma_f16 v7, v7, s13, v78
	s_mov_b32 s15, 0xb1e1
	v_add_f16_e32 v83, v86, v83
	v_mul_f16_e32 v86, 0xbbf7, v89
	v_add_f16_e32 v39, v52, v39
	v_add_f16_e32 v6, v7, v6
	v_fma_f16 v1, v1, s24, v80
	v_fma_f16 v88, v21, s10, v86
	v_add_f16_e32 v39, v73, v39
	v_add_f16_e32 v1, v1, v6
	v_fma_f16 v2, v2, s15, v81
	v_fma_f16 v204, v20, s16, -v203
	v_add_f16_e32 v83, v88, v83
	v_mul_f16_e32 v88, 0xbbb2, v90
	v_add_f16_e32 v39, v74, v39
	v_add_f16_e32 v1, v2, v1
	v_fma_f16 v2, v4, s19, -v82
	v_add_f16_e32 v201, v204, v201
	v_mul_f16_e32 v204, 0x3964, v89
	v_add_f16_e32 v191, v193, v191
	v_fma_f16 v193, v4, s14, v200
	v_add_f16_e32 v173, v175, v173
	v_fma_f16 v175, v4, s16, v182
	;; [unrolled: 2-line block ×6, first 2 shown]
	v_fma_f16 v89, v51, s17, v88
	v_add_f16_e32 v27, v27, v39
	v_add_f16_e32 v2, v16, v2
	v_fma_f16 v4, v19, s0, -v84
	v_fma_f16 v205, v21, s0, -v204
	v_add_f16_e32 v123, v16, v123
	v_fma_f16 v124, v19, s14, v131
	v_add_f16_e32 v107, v16, v107
	v_fma_f16 v108, v19, s12, v115
	v_add_f16_e32 v83, v89, v83
	v_mul_f16_e32 v89, 0xba62, v91
	v_add_f16_e32 v27, v46, v27
	v_add_f16_e32 v2, v4, v2
	v_fma_f16 v4, v20, s18, -v85
	v_add_f16_e32 v201, v205, v201
	v_mul_f16_e32 v205, 0xba62, v90
	v_add_f16_e32 v157, v16, v157
	v_fma_f16 v158, v19, s17, v166
	v_add_f16_e32 v139, v16, v139
	v_fma_f16 v140, v19, s16, v148
	;; [unrolled: 2-line block ×4, first 2 shown]
	v_fma_f16 v90, v66, s12, v89
	v_add_f16_e32 v27, v29, v27
	v_add_f16_e32 v5, v28, v5
	;; [unrolled: 1-line block ×3, first 2 shown]
	v_fma_f16 v4, v21, s10, -v86
	v_fma_f16 v206, v51, s12, -v205
	v_add_f16_e32 v193, v16, v193
	v_fma_f16 v194, v19, s19, v202
	v_add_f16_e32 v175, v16, v175
	v_fma_f16 v176, v19, s18, v184
	;; [unrolled: 2-line block ×6, first 2 shown]
	v_add_f16_e32 v83, v90, v83
	v_mul_f16_e32 v90, 0xb836, v92
	v_add_f16_e32 v27, v30, v27
	v_add_f16_e32 v5, v12, v5
	;; [unrolled: 1-line block ×3, first 2 shown]
	v_fma_f16 v4, v51, s17, -v88
	v_add_f16_e32 v201, v206, v201
	v_mul_f16_e32 v206, 0x3b29, v91
	v_add_f16_e32 v193, v194, v193
	v_fma_f16 v194, v20, s16, v203
	v_add_f16_e32 v175, v176, v175
	v_fma_f16 v176, v20, s10, v185
	;; [unrolled: 2-line block ×6, first 2 shown]
	v_fma_f16 v91, v68, s16, v90
	v_add_f16_e32 v27, v31, v27
	v_add_f16_e32 v5, v13, v5
	;; [unrolled: 1-line block ×3, first 2 shown]
	v_fma_f16 v4, v66, s12, -v89
	v_fma_f16 v207, v66, s18, -v206
	v_add_f16_e32 v193, v194, v193
	v_fma_f16 v194, v21, s0, v204
	v_add_f16_e32 v175, v176, v175
	v_fma_f16 v176, v21, s12, v186
	;; [unrolled: 2-line block ×6, first 2 shown]
	v_add_f16_e32 v83, v91, v83
	v_mul_f16_e32 v91, 0xb1e1, v93
	v_add_f16_e32 v27, v40, v27
	v_add_f16_e32 v5, v14, v5
	;; [unrolled: 1-line block ×3, first 2 shown]
	v_fma_f16 v4, v68, s16, -v90
	v_add_f16_e32 v201, v207, v201
	v_mul_f16_e32 v207, 0xbbb2, v92
	v_add_f16_e32 v193, v194, v193
	v_fma_f16 v194, v51, s12, v205
	v_add_f16_e32 v175, v176, v175
	v_fma_f16 v176, v51, s19, v187
	v_add_f16_e32 v157, v158, v157
	v_fma_f16 v158, v66, s0, v170
	v_add_f16_e32 v139, v140, v139
	v_fma_f16 v140, v66, s10, v152
	v_add_f16_e32 v123, v124, v123
	v_fma_f16 v124, v68, s12, v136
	v_add_f16_e32 v107, v108, v107
	v_fma_f16 v108, v68, s10, v120
	v_fma_f16 v92, v70, s14, v91
	v_add_f16_e32 v27, v38, v27
	v_add_f16_e32 v5, v15, v5
	;; [unrolled: 1-line block ×3, first 2 shown]
	v_fma_f16 v4, v70, s14, -v91
	v_fma_f16 v208, v68, s17, -v207
	v_add_f16_e32 v193, v194, v193
	v_fma_f16 v194, v66, s18, v206
	v_add_f16_e32 v175, v176, v175
	v_fma_f16 v176, v66, s14, v188
	;; [unrolled: 2-line block ×6, first 2 shown]
	v_add_f16_e32 v83, v92, v83
	v_add_f16_e32 v2, v4, v2
	v_pack_b32_f16 v4, v27, v5
	v_add_f16_e32 v201, v208, v201
	v_mul_f16_e32 v208, 0x3bf7, v93
	v_add_f16_e32 v193, v194, v193
	v_fma_f16 v194, v68, s17, v207
	v_add_f16_e32 v175, v176, v175
	v_fma_f16 v176, v68, s0, v189
	;; [unrolled: 2-line block ×4, first 2 shown]
	v_add_f16_e32 v123, v124, v123
	v_add_f16_e32 v107, v108, v107
	ds_write_b32 v54, v4
	v_pack_b32_f16 v4, v83, v77
	v_pack_b32_f16 v5, v72, v53
	v_add_f16_e32 v193, v194, v193
	v_fma_f16 v194, v70, s10, v208
	v_add_f16_e32 v175, v176, v175
	v_fma_f16 v176, v70, s17, v190
	v_add_f16_e32 v157, v158, v157
	v_add_f16_e32 v139, v140, v139
	ds_write2_b32 v50, v4, v5 offset0:52 offset1:104
	v_pack_b32_f16 v4, v107, v106
	v_pack_b32_f16 v5, v123, v122
	v_fma_f16 v209, v70, s10, -v208
	v_add_f16_e32 v193, v194, v193
	v_add_f16_e32 v175, v176, v175
	ds_write2_b32 v50, v4, v5 offset0:156 offset1:208
	v_pack_b32_f16 v4, v139, v138
	v_pack_b32_f16 v5, v157, v155
	v_add_u32_e32 v6, 0x400, v50
	v_add_f16_e32 v201, v209, v201
	ds_write2_b32 v6, v4, v5 offset0:4 offset1:56
	v_pack_b32_f16 v4, v175, v173
	v_pack_b32_f16 v5, v193, v191
	ds_write2_b32 v6, v4, v5 offset0:108 offset1:160
	v_pack_b32_f16 v4, v201, v192
	v_pack_b32_f16 v5, v183, v174
	v_add_u32_e32 v6, 0x600, v50
	ds_write2_b32 v6, v4, v5 offset0:84 offset1:136
	v_pack_b32_f16 v4, v165, v156
	v_pack_b32_f16 v5, v147, v103
	v_add_u32_e32 v6, 0x800, v50
	ds_write2_b32 v6, v4, v5 offset0:60 offset1:112
	v_pack_b32_f16 v4, v95, v87
	v_pack_b32_f16 v5, v79, v75
	;; [unrolled: 1-line block ×4, first 2 shown]
	v_add_u32_e32 v2, 0xc00, v50
	ds_write2_b32 v6, v4, v5 offset0:164 offset1:216
	ds_write2_b32 v2, v0, v1 offset0:12 offset1:64
.LBB0_17:
	s_or_b64 exec, exec, s[8:9]
	s_waitcnt lgkmcnt(0)
	s_barrier
	ds_read2_b32 v[4:5], v54 offset1:68
	v_mad_u64_u32 v[6:7], s[0:1], s6, v34, 0
	v_mov_b32_e32 v0, v7
	v_mov_b32_e32 v2, s2
	s_waitcnt lgkmcnt(0)
	v_lshrrev_b32_e32 v8, 16, v4
	v_mul_f16_sdwa v1, v65, v8 dst_sel:DWORD dst_unused:UNUSED_PAD src0_sel:WORD_1 src1_sel:DWORD
	v_fma_f16 v1, v65, v4, v1
	v_cvt_f32_f16_e32 v9, v1
	v_mov_b32_e32 v3, s3
	v_mad_u64_u32 v[0:1], s[0:1], s7, v34, v[0:1]
	s_mov_b32 s2, 0x1288b013
	v_mov_b32_e32 v7, v0
	v_cvt_f64_f32_e32 v[0:1], v9
	s_mov_b32 s3, 0x3f5288b0
	v_mul_f64 v[0:1], v[0:1], s[2:3]
	s_movk_i32 s6, 0x1ff
	v_and_or_b32 v0, v1, s6, v0
	v_cmp_ne_u32_e32 vcc, 0, v0
	v_lshrrev_b32_e32 v9, 8, v1
	s_movk_i32 s7, 0xffe
	v_cndmask_b32_e64 v0, 0, 1, vcc
	v_bfe_u32 v10, v1, 20, 11
	v_and_or_b32 v9, v9, s7, v0
	v_sub_u32_e32 v11, 0x3f1, v10
	v_or_b32_e32 v0, 0x1000, v9
	v_med3_i32 v11, v11, 0, 13
	v_lshrrev_b32_e32 v12, v11, v0
	v_lshlrev_b32_e32 v11, v11, v12
	v_cmp_ne_u32_e32 vcc, v11, v0
	v_add_u32_e32 v10, 0xfffffc10, v10
	v_lshl_or_b32 v11, v10, 12, v9
	v_cndmask_b32_e64 v0, 0, 1, vcc
	v_or_b32_e32 v0, v12, v0
	v_cmp_gt_i32_e32 vcc, 1, v10
	v_mul_f16_sdwa v4, v65, v4 dst_sel:DWORD dst_unused:UNUSED_PAD src0_sel:WORD_1 src1_sel:DWORD
	v_fma_f16 v4, v65, v8, -v4
	v_cndmask_b32_e32 v0, v11, v0, vcc
	v_and_b32_e32 v11, 7, v0
	v_cmp_lt_i32_e32 vcc, 5, v11
	v_cmp_eq_u32_e64 s[0:1], 3, v11
	v_lshrrev_b32_e32 v0, 2, v0
	s_or_b64 vcc, s[0:1], vcc
	v_addc_co_u32_e32 v11, vcc, 0, v0, vcc
	v_mov_b32_e32 v0, 0x7c00
	v_cmp_gt_i32_e32 vcc, 31, v10
	v_cvt_f32_f16_e32 v4, v4
	s_movk_i32 s8, 0x40f
	v_cndmask_b32_e32 v11, v0, v11, vcc
	v_cmp_ne_u32_e32 vcc, 0, v9
	s_mov_b32 s9, 0x8000
	v_and_b32_sdwa v1, v1, s9 dst_sel:DWORD dst_unused:UNUSED_PAD src0_sel:WORD_1 src1_sel:DWORD
	v_cndmask_b32_e64 v9, 0, 1, vcc
	v_lshl_or_b32 v9, v9, 9, v0
	v_cmp_eq_u32_e32 vcc, s8, v10
	s_mov_b32 s10, 0xffff
	v_lshl_add_u64 v[2:3], v[6:7], 2, v[2:3]
	v_cndmask_b32_e32 v12, v11, v9, vcc
	v_cvt_f64_f32_e32 v[8:9], v4
	v_mul_f64 v[8:9], v[8:9], s[2:3]
	v_and_or_b32 v4, v9, s6, v8
	v_cmp_ne_u32_e32 vcc, 0, v4
	v_lshrrev_b32_e32 v8, 8, v9
	v_bfe_u32 v10, v9, 20, 11
	v_cndmask_b32_e64 v4, 0, 1, vcc
	v_and_or_b32 v4, v8, s7, v4
	v_sub_u32_e32 v11, 0x3f1, v10
	v_or_b32_e32 v8, 0x1000, v4
	v_med3_i32 v11, v11, 0, 13
	v_lshrrev_b32_e32 v13, v11, v8
	v_lshlrev_b32_e32 v11, v11, v13
	v_cmp_ne_u32_e32 vcc, v11, v8
	v_add_u32_e32 v10, 0xfffffc10, v10
	v_lshl_or_b32 v11, v10, 12, v4
	v_cndmask_b32_e64 v8, 0, 1, vcc
	v_or_b32_e32 v8, v13, v8
	v_cmp_gt_i32_e32 vcc, 1, v10
	v_bitop3_b32 v1, v1, s10, v12 bitop3:0xc8
	s_nop 0
	v_cndmask_b32_e32 v8, v11, v8, vcc
	v_and_b32_e32 v11, 7, v8
	v_cmp_lt_i32_e32 vcc, 5, v11
	v_cmp_eq_u32_e64 s[0:1], 3, v11
	v_lshrrev_b32_e32 v8, 2, v8
	s_or_b64 vcc, s[0:1], vcc
	v_addc_co_u32_e32 v8, vcc, 0, v8, vcc
	v_cmp_gt_i32_e32 vcc, 31, v10
	s_nop 1
	v_cndmask_b32_e32 v8, v0, v8, vcc
	v_cmp_ne_u32_e32 vcc, 0, v4
	s_nop 1
	v_cndmask_b32_e64 v4, 0, 1, vcc
	v_lshl_or_b32 v4, v4, 9, v0
	v_cmp_eq_u32_e32 vcc, s8, v10
	s_nop 1
	v_cndmask_b32_e32 v4, v8, v4, vcc
	v_lshrrev_b32_e32 v8, 16, v9
	v_and_or_b32 v13, v8, s9, v4
	v_mad_u64_u32 v[8:9], s[0:1], s4, v32, 0
	v_mov_b32_e32 v4, v9
	v_mad_u64_u32 v[10:11], s[0:1], s5, v32, v[4:5]
	v_lshrrev_b32_e32 v4, 16, v5
	v_mov_b32_e32 v9, v10
	v_mul_f16_sdwa v10, v64, v4 dst_sel:DWORD dst_unused:UNUSED_PAD src0_sel:WORD_1 src1_sel:DWORD
	v_fma_f16 v10, v64, v5, v10
	v_cvt_f32_f16_e32 v10, v10
	v_lshl_or_b32 v1, v13, 16, v1
	v_lshl_add_u64 v[2:3], v[8:9], 2, v[2:3]
	global_store_dword v[2:3], v1, off
	v_cvt_f64_f32_e32 v[6:7], v10
	v_mul_f64 v[6:7], v[6:7], s[2:3]
	v_and_or_b32 v1, v7, s6, v6
	v_cmp_ne_u32_e32 vcc, 0, v1
	v_lshrrev_b32_e32 v6, 8, v7
	v_bfe_u32 v8, v7, 20, 11
	v_cndmask_b32_e64 v1, 0, 1, vcc
	v_and_or_b32 v1, v6, s7, v1
	v_sub_u32_e32 v9, 0x3f1, v8
	v_or_b32_e32 v6, 0x1000, v1
	v_med3_i32 v9, v9, 0, 13
	v_lshrrev_b32_e32 v10, v9, v6
	v_lshlrev_b32_e32 v9, v9, v10
	v_cmp_ne_u32_e32 vcc, v9, v6
	v_add_u32_e32 v8, 0xfffffc10, v8
	v_lshl_or_b32 v9, v8, 12, v1
	v_cndmask_b32_e64 v6, 0, 1, vcc
	v_or_b32_e32 v6, v10, v6
	v_cmp_gt_i32_e32 vcc, 1, v8
	v_mul_f16_sdwa v5, v64, v5 dst_sel:DWORD dst_unused:UNUSED_PAD src0_sel:WORD_1 src1_sel:DWORD
	v_fma_f16 v4, v64, v4, -v5
	v_cndmask_b32_e32 v6, v9, v6, vcc
	v_and_b32_e32 v9, 7, v6
	v_cmp_lt_i32_e32 vcc, 5, v9
	v_cmp_eq_u32_e64 s[0:1], 3, v9
	v_cvt_f32_f16_e32 v4, v4
	v_lshrrev_b32_e32 v6, 2, v6
	s_or_b64 vcc, s[0:1], vcc
	v_addc_co_u32_e32 v6, vcc, 0, v6, vcc
	v_cmp_gt_i32_e32 vcc, 31, v8
	v_cvt_f64_f32_e32 v[4:5], v4
	v_mul_f64 v[4:5], v[4:5], s[2:3]
	v_cndmask_b32_e32 v6, v0, v6, vcc
	v_cmp_ne_u32_e32 vcc, 0, v1
	v_and_or_b32 v4, v5, s6, v4
	s_mulk_i32 s5, 0x110
	v_cndmask_b32_e64 v1, 0, 1, vcc
	v_lshl_or_b32 v1, v1, 9, v0
	v_cmp_eq_u32_e32 vcc, s8, v8
	v_bfe_u32 v8, v5, 20, 11
	v_sub_u32_e32 v9, 0x3f1, v8
	v_cndmask_b32_e32 v1, v6, v1, vcc
	v_cmp_ne_u32_e32 vcc, 0, v4
	v_and_b32_sdwa v6, v7, s9 dst_sel:DWORD dst_unused:UNUSED_PAD src0_sel:WORD_1 src1_sel:DWORD
	v_lshrrev_b32_e32 v7, 8, v5
	v_cndmask_b32_e64 v4, 0, 1, vcc
	v_and_or_b32 v4, v7, s7, v4
	v_or_b32_e32 v7, 0x1000, v4
	v_med3_i32 v9, v9, 0, 13
	v_lshrrev_b32_e32 v10, v9, v7
	v_lshlrev_b32_e32 v9, v9, v10
	v_cmp_ne_u32_e32 vcc, v9, v7
	v_add_u32_e32 v8, 0xfffffc10, v8
	v_lshl_or_b32 v9, v8, 12, v4
	v_cndmask_b32_e64 v7, 0, 1, vcc
	v_or_b32_e32 v7, v10, v7
	v_cmp_gt_i32_e32 vcc, 1, v8
	v_lshrrev_b32_e32 v5, 16, v5
	v_bitop3_b32 v1, v6, s10, v1 bitop3:0xc8
	v_cndmask_b32_e32 v7, v9, v7, vcc
	v_and_b32_e32 v9, 7, v7
	v_cmp_lt_i32_e32 vcc, 5, v9
	v_cmp_eq_u32_e64 s[0:1], 3, v9
	v_lshrrev_b32_e32 v7, 2, v7
	s_or_b64 vcc, s[0:1], vcc
	v_addc_co_u32_e32 v7, vcc, 0, v7, vcc
	v_cmp_gt_i32_e32 vcc, 31, v8
	s_nop 1
	v_cndmask_b32_e32 v7, v0, v7, vcc
	v_cmp_ne_u32_e32 vcc, 0, v4
	s_nop 1
	v_cndmask_b32_e64 v4, 0, 1, vcc
	v_lshl_or_b32 v4, v4, 9, v0
	v_cmp_eq_u32_e32 vcc, s8, v8
	s_nop 1
	v_cndmask_b32_e32 v4, v7, v4, vcc
	v_and_or_b32 v7, v5, s9, v4
	v_add_u32_e32 v4, 0x200, v54
	ds_read2_b32 v[4:5], v4 offset0:8 offset1:144
	v_lshl_or_b32 v6, v7, 16, v1
	v_mov_b32_e32 v1, 0x110
	v_mad_u64_u32 v[2:3], s[0:1], s4, v1, v[2:3]
	s_waitcnt lgkmcnt(0)
	v_lshrrev_b32_e32 v8, 16, v4
	v_mul_f16_sdwa v7, v63, v8 dst_sel:DWORD dst_unused:UNUSED_PAD src0_sel:WORD_1 src1_sel:DWORD
	v_fma_f16 v7, v63, v4, v7
	v_cvt_f32_f16_e32 v7, v7
	v_add_u32_e32 v3, s5, v3
	global_store_dword v[2:3], v6, off
	v_mul_f16_sdwa v4, v63, v4 dst_sel:DWORD dst_unused:UNUSED_PAD src0_sel:WORD_1 src1_sel:DWORD
	v_cvt_f64_f32_e32 v[6:7], v7
	v_mul_f64 v[6:7], v[6:7], s[2:3]
	v_and_or_b32 v6, v7, s6, v6
	v_cmp_ne_u32_e32 vcc, 0, v6
	v_lshrrev_b32_e32 v9, 8, v7
	v_bfe_u32 v10, v7, 20, 11
	v_cndmask_b32_e64 v6, 0, 1, vcc
	v_and_or_b32 v6, v9, s7, v6
	v_sub_u32_e32 v11, 0x3f1, v10
	v_or_b32_e32 v9, 0x1000, v6
	v_med3_i32 v11, v11, 0, 13
	v_lshrrev_b32_e32 v12, v11, v9
	v_lshlrev_b32_e32 v11, v11, v12
	v_cmp_ne_u32_e32 vcc, v11, v9
	v_add_u32_e32 v10, 0xfffffc10, v10
	v_lshl_or_b32 v11, v10, 12, v6
	v_cndmask_b32_e64 v9, 0, 1, vcc
	v_or_b32_e32 v9, v12, v9
	v_cmp_gt_i32_e32 vcc, 1, v10
	v_fma_f16 v4, v63, v8, -v4
	v_cvt_f32_f16_e32 v4, v4
	v_cndmask_b32_e32 v9, v11, v9, vcc
	v_and_b32_e32 v11, 7, v9
	v_cmp_lt_i32_e32 vcc, 5, v11
	v_cmp_eq_u32_e64 s[0:1], 3, v11
	v_lshrrev_b32_e32 v9, 2, v9
	s_or_b64 vcc, s[0:1], vcc
	v_addc_co_u32_e32 v9, vcc, 0, v9, vcc
	v_cmp_gt_i32_e32 vcc, 31, v10
	s_nop 1
	v_cndmask_b32_e32 v9, v0, v9, vcc
	v_cmp_ne_u32_e32 vcc, 0, v6
	s_nop 1
	v_cndmask_b32_e64 v6, 0, 1, vcc
	v_lshl_or_b32 v6, v6, 9, v0
	v_cmp_eq_u32_e32 vcc, s8, v10
	s_nop 1
	v_cndmask_b32_e32 v8, v9, v6, vcc
	v_and_b32_sdwa v9, v7, s9 dst_sel:DWORD dst_unused:UNUSED_PAD src0_sel:WORD_1 src1_sel:DWORD
	v_cvt_f64_f32_e32 v[6:7], v4
	v_mul_f64 v[6:7], v[6:7], s[2:3]
	v_and_or_b32 v4, v7, s6, v6
	v_cmp_ne_u32_e32 vcc, 0, v4
	v_lshrrev_b32_e32 v6, 8, v7
	v_bfe_u32 v10, v7, 20, 11
	v_cndmask_b32_e64 v4, 0, 1, vcc
	v_and_or_b32 v4, v6, s7, v4
	v_sub_u32_e32 v11, 0x3f1, v10
	v_or_b32_e32 v6, 0x1000, v4
	v_med3_i32 v11, v11, 0, 13
	v_lshrrev_b32_e32 v12, v11, v6
	v_lshlrev_b32_e32 v11, v11, v12
	v_cmp_ne_u32_e32 vcc, v11, v6
	v_add_u32_e32 v10, 0xfffffc10, v10
	v_lshl_or_b32 v11, v10, 12, v4
	v_cndmask_b32_e64 v6, 0, 1, vcc
	v_or_b32_e32 v6, v12, v6
	v_cmp_gt_i32_e32 vcc, 1, v10
	s_nop 1
	v_cndmask_b32_e32 v6, v11, v6, vcc
	v_and_b32_e32 v11, 7, v6
	v_cmp_lt_i32_e32 vcc, 5, v11
	v_cmp_eq_u32_e64 s[0:1], 3, v11
	v_lshrrev_b32_e32 v6, 2, v6
	s_or_b64 vcc, s[0:1], vcc
	v_addc_co_u32_e32 v6, vcc, 0, v6, vcc
	v_cmp_gt_i32_e32 vcc, 31, v10
	v_mad_u64_u32 v[2:3], s[0:1], s4, v1, v[2:3]
	s_nop 0
	v_cndmask_b32_e32 v6, v0, v6, vcc
	v_cmp_ne_u32_e32 vcc, 0, v4
	v_add_u32_e32 v3, s5, v3
	s_nop 0
	v_cndmask_b32_e64 v4, 0, 1, vcc
	v_cmp_eq_u32_e32 vcc, s8, v10
	ds_read_b32 v10, v50 offset:816
	v_lshl_or_b32 v4, v4, 9, v0
	v_cndmask_b32_e32 v4, v6, v4, vcc
	v_lshrrev_b32_e32 v6, 16, v7
	v_and_or_b32 v4, v6, s9, v4
	v_bitop3_b32 v6, v9, s10, v8 bitop3:0xc8
	s_waitcnt lgkmcnt(0)
	v_lshrrev_b32_e32 v8, 16, v10
	v_lshl_or_b32 v4, v4, 16, v6
	v_mul_f16_sdwa v6, v62, v8 dst_sel:DWORD dst_unused:UNUSED_PAD src0_sel:WORD_1 src1_sel:DWORD
	v_fma_f16 v6, v62, v10, v6
	v_cvt_f32_f16_e32 v6, v6
	global_store_dword v[2:3], v4, off
	v_mul_f16_sdwa v10, v62, v10 dst_sel:DWORD dst_unused:UNUSED_PAD src0_sel:WORD_1 src1_sel:DWORD
	v_fma_f16 v8, v62, v8, -v10
	v_cvt_f64_f32_e32 v[6:7], v6
	v_mul_f64 v[6:7], v[6:7], s[2:3]
	v_and_or_b32 v4, v7, s6, v6
	v_cmp_ne_u32_e32 vcc, 0, v4
	v_lshrrev_b32_e32 v6, 8, v7
	v_bfe_u32 v9, v7, 20, 11
	v_cndmask_b32_e64 v4, 0, 1, vcc
	v_and_or_b32 v4, v6, s7, v4
	v_sub_u32_e32 v11, 0x3f1, v9
	v_or_b32_e32 v6, 0x1000, v4
	v_med3_i32 v11, v11, 0, 13
	v_lshrrev_b32_e32 v12, v11, v6
	v_lshlrev_b32_e32 v11, v11, v12
	v_cmp_ne_u32_e32 vcc, v11, v6
	v_add_u32_e32 v9, 0xfffffc10, v9
	v_lshl_or_b32 v11, v9, 12, v4
	v_cndmask_b32_e64 v6, 0, 1, vcc
	v_or_b32_e32 v6, v12, v6
	v_cmp_gt_i32_e32 vcc, 1, v9
	v_cvt_f32_f16_e32 v8, v8
	s_nop 0
	v_cndmask_b32_e32 v6, v11, v6, vcc
	v_and_b32_e32 v11, 7, v6
	v_cmp_lt_i32_e32 vcc, 5, v11
	v_cmp_eq_u32_e64 s[0:1], 3, v11
	v_lshrrev_b32_e32 v6, 2, v6
	s_or_b64 vcc, s[0:1], vcc
	v_addc_co_u32_e32 v6, vcc, 0, v6, vcc
	v_cmp_gt_i32_e32 vcc, 31, v9
	s_nop 1
	v_cndmask_b32_e32 v6, v0, v6, vcc
	v_cmp_ne_u32_e32 vcc, 0, v4
	s_nop 1
	v_cndmask_b32_e64 v4, 0, 1, vcc
	v_lshl_or_b32 v4, v4, 9, v0
	v_cmp_eq_u32_e32 vcc, s8, v9
	v_and_b32_sdwa v9, v7, s9 dst_sel:DWORD dst_unused:UNUSED_PAD src0_sel:WORD_1 src1_sel:DWORD
	s_nop 0
	v_cndmask_b32_e32 v4, v6, v4, vcc
	v_cvt_f64_f32_e32 v[6:7], v8
	v_mul_f64 v[6:7], v[6:7], s[2:3]
	v_and_or_b32 v6, v7, s6, v6
	v_cmp_ne_u32_e32 vcc, 0, v6
	v_lshrrev_b32_e32 v8, 8, v7
	v_bfe_u32 v10, v7, 20, 11
	v_cndmask_b32_e64 v6, 0, 1, vcc
	v_and_or_b32 v6, v8, s7, v6
	v_sub_u32_e32 v11, 0x3f1, v10
	v_or_b32_e32 v8, 0x1000, v6
	v_med3_i32 v11, v11, 0, 13
	v_lshrrev_b32_e32 v12, v11, v8
	v_lshlrev_b32_e32 v11, v11, v12
	v_cmp_ne_u32_e32 vcc, v11, v8
	v_add_u32_e32 v10, 0xfffffc10, v10
	v_lshl_or_b32 v11, v10, 12, v6
	v_cndmask_b32_e64 v8, 0, 1, vcc
	v_or_b32_e32 v8, v12, v8
	v_cmp_gt_i32_e32 vcc, 1, v10
	v_lshrrev_b32_e32 v7, 16, v7
	v_bitop3_b32 v4, v9, s10, v4 bitop3:0xc8
	v_cndmask_b32_e32 v8, v11, v8, vcc
	v_and_b32_e32 v11, 7, v8
	v_cmp_lt_i32_e32 vcc, 5, v11
	v_cmp_eq_u32_e64 s[0:1], 3, v11
	v_lshrrev_b32_e32 v8, 2, v8
	s_or_b64 vcc, s[0:1], vcc
	v_addc_co_u32_e32 v8, vcc, 0, v8, vcc
	v_cmp_gt_i32_e32 vcc, 31, v10
	v_mad_u64_u32 v[2:3], s[0:1], s4, v1, v[2:3]
	s_nop 0
	v_cndmask_b32_e32 v8, v0, v8, vcc
	v_cmp_ne_u32_e32 vcc, 0, v6
	v_add_u32_e32 v3, s5, v3
	s_nop 0
	v_cndmask_b32_e64 v6, 0, 1, vcc
	v_lshl_or_b32 v6, v6, 9, v0
	v_cmp_eq_u32_e32 vcc, s8, v10
	s_nop 1
	v_cndmask_b32_e32 v6, v8, v6, vcc
	v_and_or_b32 v6, v7, s9, v6
	v_lshrrev_b32_e32 v8, 16, v5
	v_lshl_or_b32 v4, v6, 16, v4
	v_mul_f16_sdwa v6, v61, v8 dst_sel:DWORD dst_unused:UNUSED_PAD src0_sel:WORD_1 src1_sel:DWORD
	v_fma_f16 v6, v61, v5, v6
	v_cvt_f32_f16_e32 v6, v6
	global_store_dword v[2:3], v4, off
	v_mul_f16_sdwa v5, v61, v5 dst_sel:DWORD dst_unused:UNUSED_PAD src0_sel:WORD_1 src1_sel:DWORD
	v_fma_f16 v5, v61, v8, -v5
	v_cvt_f64_f32_e32 v[6:7], v6
	v_mul_f64 v[6:7], v[6:7], s[2:3]
	v_and_or_b32 v4, v7, s6, v6
	v_cmp_ne_u32_e32 vcc, 0, v4
	v_lshrrev_b32_e32 v6, 8, v7
	v_bfe_u32 v9, v7, 20, 11
	v_cndmask_b32_e64 v4, 0, 1, vcc
	v_and_or_b32 v4, v6, s7, v4
	v_sub_u32_e32 v10, 0x3f1, v9
	v_or_b32_e32 v6, 0x1000, v4
	v_med3_i32 v10, v10, 0, 13
	v_lshrrev_b32_e32 v11, v10, v6
	v_lshlrev_b32_e32 v10, v10, v11
	v_cmp_ne_u32_e32 vcc, v10, v6
	v_add_u32_e32 v9, 0xfffffc10, v9
	v_lshl_or_b32 v10, v9, 12, v4
	v_cndmask_b32_e64 v6, 0, 1, vcc
	v_or_b32_e32 v6, v11, v6
	v_cmp_gt_i32_e32 vcc, 1, v9
	v_cvt_f32_f16_e32 v5, v5
	s_nop 0
	v_cndmask_b32_e32 v6, v10, v6, vcc
	v_and_b32_e32 v10, 7, v6
	v_cmp_lt_i32_e32 vcc, 5, v10
	v_cmp_eq_u32_e64 s[0:1], 3, v10
	v_lshrrev_b32_e32 v6, 2, v6
	s_or_b64 vcc, s[0:1], vcc
	v_addc_co_u32_e32 v6, vcc, 0, v6, vcc
	v_cmp_gt_i32_e32 vcc, 31, v9
	s_nop 1
	v_cndmask_b32_e32 v6, v0, v6, vcc
	v_cmp_ne_u32_e32 vcc, 0, v4
	s_nop 1
	v_cndmask_b32_e64 v4, 0, 1, vcc
	v_lshl_or_b32 v4, v4, 9, v0
	v_cmp_eq_u32_e32 vcc, s8, v9
	v_and_b32_sdwa v9, v7, s9 dst_sel:DWORD dst_unused:UNUSED_PAD src0_sel:WORD_1 src1_sel:DWORD
	s_nop 0
	v_cndmask_b32_e32 v8, v6, v4, vcc
	v_cvt_f64_f32_e32 v[4:5], v5
	v_mul_f64 v[4:5], v[4:5], s[2:3]
	v_and_or_b32 v4, v5, s6, v4
	v_cmp_ne_u32_e32 vcc, 0, v4
	v_lshrrev_b32_e32 v6, 8, v5
	v_bfe_u32 v7, v5, 20, 11
	v_cndmask_b32_e64 v4, 0, 1, vcc
	v_and_or_b32 v4, v6, s7, v4
	v_sub_u32_e32 v10, 0x3f1, v7
	v_or_b32_e32 v6, 0x1000, v4
	v_med3_i32 v10, v10, 0, 13
	v_lshrrev_b32_e32 v11, v10, v6
	v_lshlrev_b32_e32 v10, v10, v11
	v_cmp_ne_u32_e32 vcc, v10, v6
	v_add_u32_e32 v7, 0xfffffc10, v7
	v_lshl_or_b32 v10, v7, 12, v4
	v_cndmask_b32_e64 v6, 0, 1, vcc
	v_or_b32_e32 v6, v11, v6
	v_cmp_gt_i32_e32 vcc, 1, v7
	v_lshrrev_b32_e32 v5, 16, v5
	s_nop 0
	v_cndmask_b32_e32 v6, v10, v6, vcc
	v_and_b32_e32 v10, 7, v6
	v_cmp_lt_i32_e32 vcc, 5, v10
	v_cmp_eq_u32_e64 s[0:1], 3, v10
	v_lshrrev_b32_e32 v6, 2, v6
	s_or_b64 vcc, s[0:1], vcc
	v_addc_co_u32_e32 v6, vcc, 0, v6, vcc
	v_cmp_gt_i32_e32 vcc, 31, v7
	v_mad_u64_u32 v[2:3], s[0:1], s4, v1, v[2:3]
	s_nop 0
	v_cndmask_b32_e32 v6, v0, v6, vcc
	v_cmp_ne_u32_e32 vcc, 0, v4
	v_add_u32_e32 v3, s5, v3
	s_nop 0
	v_cndmask_b32_e64 v4, 0, 1, vcc
	v_lshl_or_b32 v4, v4, 9, v0
	v_cmp_eq_u32_e32 vcc, s8, v7
	s_nop 1
	v_cndmask_b32_e32 v4, v6, v4, vcc
	v_add_u32_e32 v6, 0x400, v54
	ds_read2_b32 v[6:7], v6 offset0:84 offset1:152
	v_and_or_b32 v4, v5, s9, v4
	v_bitop3_b32 v5, v9, s10, v8 bitop3:0xc8
	v_lshl_or_b32 v4, v4, 16, v5
	global_store_dword v[2:3], v4, off
	s_waitcnt lgkmcnt(0)
	v_lshrrev_b32_e32 v8, 16, v6
	v_mul_f16_sdwa v5, v60, v8 dst_sel:DWORD dst_unused:UNUSED_PAD src0_sel:WORD_1 src1_sel:DWORD
	v_fma_f16 v5, v60, v6, v5
	v_cvt_f32_f16_e32 v5, v5
	v_mul_f16_sdwa v6, v60, v6 dst_sel:DWORD dst_unused:UNUSED_PAD src0_sel:WORD_1 src1_sel:DWORD
	v_fma_f16 v6, v60, v8, -v6
	v_cvt_f32_f16_e32 v6, v6
	v_cvt_f64_f32_e32 v[4:5], v5
	v_mul_f64 v[4:5], v[4:5], s[2:3]
	v_and_or_b32 v4, v5, s6, v4
	v_cmp_ne_u32_e32 vcc, 0, v4
	v_lshrrev_b32_e32 v9, 8, v5
	v_bfe_u32 v10, v5, 20, 11
	v_cndmask_b32_e64 v4, 0, 1, vcc
	v_and_or_b32 v4, v9, s7, v4
	v_sub_u32_e32 v11, 0x3f1, v10
	v_or_b32_e32 v9, 0x1000, v4
	v_med3_i32 v11, v11, 0, 13
	v_lshrrev_b32_e32 v12, v11, v9
	v_lshlrev_b32_e32 v11, v11, v12
	v_cmp_ne_u32_e32 vcc, v11, v9
	v_add_u32_e32 v10, 0xfffffc10, v10
	v_lshl_or_b32 v11, v10, 12, v4
	v_cndmask_b32_e64 v9, 0, 1, vcc
	v_or_b32_e32 v9, v12, v9
	v_cmp_gt_i32_e32 vcc, 1, v10
	s_nop 1
	v_cndmask_b32_e32 v9, v11, v9, vcc
	v_and_b32_e32 v11, 7, v9
	v_cmp_lt_i32_e32 vcc, 5, v11
	v_cmp_eq_u32_e64 s[0:1], 3, v11
	v_lshrrev_b32_e32 v9, 2, v9
	s_or_b64 vcc, s[0:1], vcc
	v_addc_co_u32_e32 v9, vcc, 0, v9, vcc
	v_cmp_gt_i32_e32 vcc, 31, v10
	s_nop 1
	v_cndmask_b32_e32 v9, v0, v9, vcc
	v_cmp_ne_u32_e32 vcc, 0, v4
	s_nop 1
	v_cndmask_b32_e64 v4, 0, 1, vcc
	v_lshl_or_b32 v4, v4, 9, v0
	v_cmp_eq_u32_e32 vcc, s8, v10
	s_nop 1
	v_cndmask_b32_e32 v8, v9, v4, vcc
	v_and_b32_sdwa v9, v5, s9 dst_sel:DWORD dst_unused:UNUSED_PAD src0_sel:WORD_1 src1_sel:DWORD
	v_cvt_f64_f32_e32 v[4:5], v6
	v_mul_f64 v[4:5], v[4:5], s[2:3]
	v_and_or_b32 v4, v5, s6, v4
	v_cmp_ne_u32_e32 vcc, 0, v4
	v_lshrrev_b32_e32 v6, 8, v5
	v_bfe_u32 v10, v5, 20, 11
	v_cndmask_b32_e64 v4, 0, 1, vcc
	v_and_or_b32 v4, v6, s7, v4
	v_sub_u32_e32 v11, 0x3f1, v10
	v_or_b32_e32 v6, 0x1000, v4
	v_med3_i32 v11, v11, 0, 13
	v_lshrrev_b32_e32 v12, v11, v6
	v_lshlrev_b32_e32 v11, v11, v12
	v_cmp_ne_u32_e32 vcc, v11, v6
	v_add_u32_e32 v10, 0xfffffc10, v10
	v_lshl_or_b32 v11, v10, 12, v4
	v_cndmask_b32_e64 v6, 0, 1, vcc
	v_or_b32_e32 v6, v12, v6
	v_cmp_gt_i32_e32 vcc, 1, v10
	v_lshrrev_b32_e32 v5, 16, v5
	s_nop 0
	v_cndmask_b32_e32 v6, v11, v6, vcc
	v_and_b32_e32 v11, 7, v6
	v_cmp_lt_i32_e32 vcc, 5, v11
	v_cmp_eq_u32_e64 s[0:1], 3, v11
	v_lshrrev_b32_e32 v6, 2, v6
	s_or_b64 vcc, s[0:1], vcc
	v_addc_co_u32_e32 v6, vcc, 0, v6, vcc
	v_cmp_gt_i32_e32 vcc, 31, v10
	v_mad_u64_u32 v[2:3], s[0:1], s4, v1, v[2:3]
	s_nop 0
	v_cndmask_b32_e32 v6, v0, v6, vcc
	v_cmp_ne_u32_e32 vcc, 0, v4
	v_add_u32_e32 v3, s5, v3
	s_nop 0
	v_cndmask_b32_e64 v4, 0, 1, vcc
	v_lshl_or_b32 v4, v4, 9, v0
	v_cmp_eq_u32_e32 vcc, s8, v10
	s_nop 1
	v_cndmask_b32_e32 v4, v6, v4, vcc
	v_and_or_b32 v4, v5, s9, v4
	v_bitop3_b32 v5, v9, s10, v8 bitop3:0xc8
	v_lshrrev_b32_e32 v6, 16, v7
	v_lshl_or_b32 v4, v4, 16, v5
	v_mul_f16_sdwa v5, v59, v6 dst_sel:DWORD dst_unused:UNUSED_PAD src0_sel:WORD_1 src1_sel:DWORD
	v_fma_f16 v5, v59, v7, v5
	v_cvt_f32_f16_e32 v5, v5
	global_store_dword v[2:3], v4, off
	v_mul_f16_sdwa v7, v59, v7 dst_sel:DWORD dst_unused:UNUSED_PAD src0_sel:WORD_1 src1_sel:DWORD
	v_fma_f16 v6, v59, v6, -v7
	v_cvt_f64_f32_e32 v[4:5], v5
	v_mul_f64 v[4:5], v[4:5], s[2:3]
	v_and_or_b32 v4, v5, s6, v4
	v_cmp_ne_u32_e32 vcc, 0, v4
	v_lshrrev_b32_e32 v8, 8, v5
	v_bfe_u32 v9, v5, 20, 11
	v_cndmask_b32_e64 v4, 0, 1, vcc
	v_and_or_b32 v4, v8, s7, v4
	v_sub_u32_e32 v10, 0x3f1, v9
	v_or_b32_e32 v8, 0x1000, v4
	v_med3_i32 v10, v10, 0, 13
	v_lshrrev_b32_e32 v11, v10, v8
	v_lshlrev_b32_e32 v10, v10, v11
	v_cmp_ne_u32_e32 vcc, v10, v8
	v_add_u32_e32 v9, 0xfffffc10, v9
	v_lshl_or_b32 v10, v9, 12, v4
	v_cndmask_b32_e64 v8, 0, 1, vcc
	v_or_b32_e32 v8, v11, v8
	v_cmp_gt_i32_e32 vcc, 1, v9
	v_cvt_f32_f16_e32 v6, v6
	s_nop 0
	v_cndmask_b32_e32 v8, v10, v8, vcc
	v_and_b32_e32 v10, 7, v8
	v_cmp_lt_i32_e32 vcc, 5, v10
	v_cmp_eq_u32_e64 s[0:1], 3, v10
	v_lshrrev_b32_e32 v8, 2, v8
	s_or_b64 vcc, s[0:1], vcc
	v_addc_co_u32_e32 v8, vcc, 0, v8, vcc
	v_cmp_gt_i32_e32 vcc, 31, v9
	s_nop 1
	v_cndmask_b32_e32 v8, v0, v8, vcc
	v_cmp_ne_u32_e32 vcc, 0, v4
	s_nop 1
	v_cndmask_b32_e64 v4, 0, 1, vcc
	v_lshl_or_b32 v4, v4, 9, v0
	v_cmp_eq_u32_e32 vcc, s8, v9
	v_and_b32_sdwa v9, v5, s9 dst_sel:DWORD dst_unused:UNUSED_PAD src0_sel:WORD_1 src1_sel:DWORD
	s_nop 0
	v_cndmask_b32_e32 v8, v8, v4, vcc
	v_cvt_f64_f32_e32 v[4:5], v6
	v_mul_f64 v[4:5], v[4:5], s[2:3]
	v_and_or_b32 v4, v5, s6, v4
	v_cmp_ne_u32_e32 vcc, 0, v4
	v_lshrrev_b32_e32 v6, 8, v5
	v_bfe_u32 v7, v5, 20, 11
	v_cndmask_b32_e64 v4, 0, 1, vcc
	v_and_or_b32 v4, v6, s7, v4
	v_sub_u32_e32 v10, 0x3f1, v7
	v_or_b32_e32 v6, 0x1000, v4
	v_med3_i32 v10, v10, 0, 13
	v_lshrrev_b32_e32 v11, v10, v6
	v_lshlrev_b32_e32 v10, v10, v11
	v_cmp_ne_u32_e32 vcc, v10, v6
	v_add_u32_e32 v7, 0xfffffc10, v7
	v_lshl_or_b32 v10, v7, 12, v4
	v_cndmask_b32_e64 v6, 0, 1, vcc
	v_or_b32_e32 v6, v11, v6
	v_cmp_gt_i32_e32 vcc, 1, v7
	v_lshrrev_b32_e32 v5, 16, v5
	s_nop 0
	v_cndmask_b32_e32 v6, v10, v6, vcc
	v_and_b32_e32 v10, 7, v6
	v_cmp_lt_i32_e32 vcc, 5, v10
	v_cmp_eq_u32_e64 s[0:1], 3, v10
	v_lshrrev_b32_e32 v6, 2, v6
	s_or_b64 vcc, s[0:1], vcc
	v_addc_co_u32_e32 v6, vcc, 0, v6, vcc
	v_cmp_gt_i32_e32 vcc, 31, v7
	v_mad_u64_u32 v[2:3], s[0:1], s4, v1, v[2:3]
	s_nop 0
	v_cndmask_b32_e32 v6, v0, v6, vcc
	v_cmp_ne_u32_e32 vcc, 0, v4
	v_add_u32_e32 v3, s5, v3
	s_nop 0
	v_cndmask_b32_e64 v4, 0, 1, vcc
	v_lshl_or_b32 v4, v4, 9, v0
	v_cmp_eq_u32_e32 vcc, s8, v7
	s_nop 1
	v_cndmask_b32_e32 v4, v6, v4, vcc
	v_add_u32_e32 v6, 0x600, v54
	ds_read2_b32 v[6:7], v6 offset0:92 offset1:160
	v_and_or_b32 v4, v5, s9, v4
	v_bitop3_b32 v5, v9, s10, v8 bitop3:0xc8
	v_lshl_or_b32 v4, v4, 16, v5
	global_store_dword v[2:3], v4, off
	s_waitcnt lgkmcnt(0)
	v_lshrrev_b32_e32 v8, 16, v6
	v_mul_f16_sdwa v5, v58, v8 dst_sel:DWORD dst_unused:UNUSED_PAD src0_sel:WORD_1 src1_sel:DWORD
	v_fma_f16 v5, v58, v6, v5
	v_cvt_f32_f16_e32 v5, v5
	v_mul_f16_sdwa v6, v58, v6 dst_sel:DWORD dst_unused:UNUSED_PAD src0_sel:WORD_1 src1_sel:DWORD
	v_fma_f16 v6, v58, v8, -v6
	v_cvt_f32_f16_e32 v6, v6
	v_cvt_f64_f32_e32 v[4:5], v5
	v_mul_f64 v[4:5], v[4:5], s[2:3]
	v_and_or_b32 v4, v5, s6, v4
	v_cmp_ne_u32_e32 vcc, 0, v4
	v_lshrrev_b32_e32 v9, 8, v5
	v_bfe_u32 v10, v5, 20, 11
	v_cndmask_b32_e64 v4, 0, 1, vcc
	v_and_or_b32 v4, v9, s7, v4
	v_sub_u32_e32 v11, 0x3f1, v10
	v_or_b32_e32 v9, 0x1000, v4
	v_med3_i32 v11, v11, 0, 13
	v_lshrrev_b32_e32 v12, v11, v9
	v_lshlrev_b32_e32 v11, v11, v12
	v_cmp_ne_u32_e32 vcc, v11, v9
	v_add_u32_e32 v10, 0xfffffc10, v10
	v_lshl_or_b32 v11, v10, 12, v4
	v_cndmask_b32_e64 v9, 0, 1, vcc
	v_or_b32_e32 v9, v12, v9
	v_cmp_gt_i32_e32 vcc, 1, v10
	s_nop 1
	v_cndmask_b32_e32 v9, v11, v9, vcc
	v_and_b32_e32 v11, 7, v9
	v_cmp_lt_i32_e32 vcc, 5, v11
	v_cmp_eq_u32_e64 s[0:1], 3, v11
	v_lshrrev_b32_e32 v9, 2, v9
	s_or_b64 vcc, s[0:1], vcc
	v_addc_co_u32_e32 v9, vcc, 0, v9, vcc
	v_cmp_gt_i32_e32 vcc, 31, v10
	s_nop 1
	v_cndmask_b32_e32 v9, v0, v9, vcc
	v_cmp_ne_u32_e32 vcc, 0, v4
	s_nop 1
	v_cndmask_b32_e64 v4, 0, 1, vcc
	v_lshl_or_b32 v4, v4, 9, v0
	v_cmp_eq_u32_e32 vcc, s8, v10
	s_nop 1
	v_cndmask_b32_e32 v8, v9, v4, vcc
	v_and_b32_sdwa v9, v5, s9 dst_sel:DWORD dst_unused:UNUSED_PAD src0_sel:WORD_1 src1_sel:DWORD
	v_cvt_f64_f32_e32 v[4:5], v6
	v_mul_f64 v[4:5], v[4:5], s[2:3]
	v_and_or_b32 v4, v5, s6, v4
	v_cmp_ne_u32_e32 vcc, 0, v4
	v_lshrrev_b32_e32 v6, 8, v5
	v_bfe_u32 v10, v5, 20, 11
	v_cndmask_b32_e64 v4, 0, 1, vcc
	v_and_or_b32 v4, v6, s7, v4
	v_sub_u32_e32 v11, 0x3f1, v10
	v_or_b32_e32 v6, 0x1000, v4
	v_med3_i32 v11, v11, 0, 13
	v_lshrrev_b32_e32 v12, v11, v6
	v_lshlrev_b32_e32 v11, v11, v12
	v_cmp_ne_u32_e32 vcc, v11, v6
	v_add_u32_e32 v10, 0xfffffc10, v10
	v_lshl_or_b32 v11, v10, 12, v4
	v_cndmask_b32_e64 v6, 0, 1, vcc
	v_or_b32_e32 v6, v12, v6
	v_cmp_gt_i32_e32 vcc, 1, v10
	v_lshrrev_b32_e32 v5, 16, v5
	s_nop 0
	v_cndmask_b32_e32 v6, v11, v6, vcc
	v_and_b32_e32 v11, 7, v6
	v_cmp_lt_i32_e32 vcc, 5, v11
	v_cmp_eq_u32_e64 s[0:1], 3, v11
	v_lshrrev_b32_e32 v6, 2, v6
	s_or_b64 vcc, s[0:1], vcc
	v_addc_co_u32_e32 v6, vcc, 0, v6, vcc
	v_cmp_gt_i32_e32 vcc, 31, v10
	v_mad_u64_u32 v[2:3], s[0:1], s4, v1, v[2:3]
	s_nop 0
	v_cndmask_b32_e32 v6, v0, v6, vcc
	v_cmp_ne_u32_e32 vcc, 0, v4
	v_add_u32_e32 v3, s5, v3
	s_nop 0
	v_cndmask_b32_e64 v4, 0, 1, vcc
	v_lshl_or_b32 v4, v4, 9, v0
	v_cmp_eq_u32_e32 vcc, s8, v10
	s_nop 1
	v_cndmask_b32_e32 v4, v6, v4, vcc
	v_and_or_b32 v4, v5, s9, v4
	v_bitop3_b32 v5, v9, s10, v8 bitop3:0xc8
	v_lshrrev_b32_e32 v6, 16, v7
	v_lshl_or_b32 v4, v4, 16, v5
	v_mul_f16_sdwa v5, v57, v6 dst_sel:DWORD dst_unused:UNUSED_PAD src0_sel:WORD_1 src1_sel:DWORD
	v_fma_f16 v5, v57, v7, v5
	v_cvt_f32_f16_e32 v5, v5
	global_store_dword v[2:3], v4, off
	v_mul_f16_sdwa v7, v57, v7 dst_sel:DWORD dst_unused:UNUSED_PAD src0_sel:WORD_1 src1_sel:DWORD
	v_fma_f16 v6, v57, v6, -v7
	v_cvt_f64_f32_e32 v[4:5], v5
	v_mul_f64 v[4:5], v[4:5], s[2:3]
	v_and_or_b32 v4, v5, s6, v4
	v_cmp_ne_u32_e32 vcc, 0, v4
	v_lshrrev_b32_e32 v8, 8, v5
	v_bfe_u32 v9, v5, 20, 11
	v_cndmask_b32_e64 v4, 0, 1, vcc
	v_and_or_b32 v4, v8, s7, v4
	v_sub_u32_e32 v10, 0x3f1, v9
	v_or_b32_e32 v8, 0x1000, v4
	v_med3_i32 v10, v10, 0, 13
	v_lshrrev_b32_e32 v11, v10, v8
	v_lshlrev_b32_e32 v10, v10, v11
	v_cmp_ne_u32_e32 vcc, v10, v8
	v_add_u32_e32 v9, 0xfffffc10, v9
	v_lshl_or_b32 v10, v9, 12, v4
	v_cndmask_b32_e64 v8, 0, 1, vcc
	v_or_b32_e32 v8, v11, v8
	v_cmp_gt_i32_e32 vcc, 1, v9
	v_cvt_f32_f16_e32 v6, v6
	s_nop 0
	v_cndmask_b32_e32 v8, v10, v8, vcc
	v_and_b32_e32 v10, 7, v8
	v_cmp_lt_i32_e32 vcc, 5, v10
	v_cmp_eq_u32_e64 s[0:1], 3, v10
	v_lshrrev_b32_e32 v8, 2, v8
	s_or_b64 vcc, s[0:1], vcc
	v_addc_co_u32_e32 v8, vcc, 0, v8, vcc
	v_cmp_gt_i32_e32 vcc, 31, v9
	s_nop 1
	v_cndmask_b32_e32 v8, v0, v8, vcc
	v_cmp_ne_u32_e32 vcc, 0, v4
	s_nop 1
	v_cndmask_b32_e64 v4, 0, 1, vcc
	v_lshl_or_b32 v4, v4, 9, v0
	v_cmp_eq_u32_e32 vcc, s8, v9
	v_and_b32_sdwa v9, v5, s9 dst_sel:DWORD dst_unused:UNUSED_PAD src0_sel:WORD_1 src1_sel:DWORD
	s_nop 0
	v_cndmask_b32_e32 v8, v8, v4, vcc
	v_cvt_f64_f32_e32 v[4:5], v6
	v_mul_f64 v[4:5], v[4:5], s[2:3]
	v_and_or_b32 v4, v5, s6, v4
	v_cmp_ne_u32_e32 vcc, 0, v4
	v_lshrrev_b32_e32 v6, 8, v5
	v_bfe_u32 v7, v5, 20, 11
	v_cndmask_b32_e64 v4, 0, 1, vcc
	v_and_or_b32 v4, v6, s7, v4
	v_sub_u32_e32 v10, 0x3f1, v7
	v_or_b32_e32 v6, 0x1000, v4
	v_med3_i32 v10, v10, 0, 13
	v_lshrrev_b32_e32 v11, v10, v6
	v_lshlrev_b32_e32 v10, v10, v11
	v_cmp_ne_u32_e32 vcc, v10, v6
	v_add_u32_e32 v7, 0xfffffc10, v7
	v_lshl_or_b32 v10, v7, 12, v4
	v_cndmask_b32_e64 v6, 0, 1, vcc
	v_or_b32_e32 v6, v11, v6
	v_cmp_gt_i32_e32 vcc, 1, v7
	v_lshrrev_b32_e32 v5, 16, v5
	s_nop 0
	v_cndmask_b32_e32 v6, v10, v6, vcc
	v_and_b32_e32 v10, 7, v6
	v_cmp_lt_i32_e32 vcc, 5, v10
	v_cmp_eq_u32_e64 s[0:1], 3, v10
	v_lshrrev_b32_e32 v6, 2, v6
	s_or_b64 vcc, s[0:1], vcc
	v_addc_co_u32_e32 v6, vcc, 0, v6, vcc
	v_cmp_gt_i32_e32 vcc, 31, v7
	v_mad_u64_u32 v[2:3], s[0:1], s4, v1, v[2:3]
	s_nop 0
	v_cndmask_b32_e32 v6, v0, v6, vcc
	v_cmp_ne_u32_e32 vcc, 0, v4
	v_add_u32_e32 v3, s5, v3
	s_nop 0
	v_cndmask_b32_e64 v4, 0, 1, vcc
	v_lshl_or_b32 v4, v4, 9, v0
	v_cmp_eq_u32_e32 vcc, s8, v7
	s_nop 1
	v_cndmask_b32_e32 v4, v6, v4, vcc
	v_add_u32_e32 v6, 0x800, v54
	ds_read2_b32 v[6:7], v6 offset0:100 offset1:168
	v_and_or_b32 v4, v5, s9, v4
	v_bitop3_b32 v5, v9, s10, v8 bitop3:0xc8
	v_lshl_or_b32 v4, v4, 16, v5
	global_store_dword v[2:3], v4, off
	s_waitcnt lgkmcnt(0)
	v_lshrrev_b32_e32 v8, 16, v6
	v_mul_f16_sdwa v5, v56, v8 dst_sel:DWORD dst_unused:UNUSED_PAD src0_sel:WORD_1 src1_sel:DWORD
	v_fma_f16 v5, v56, v6, v5
	v_cvt_f32_f16_e32 v5, v5
	v_mul_f16_sdwa v6, v56, v6 dst_sel:DWORD dst_unused:UNUSED_PAD src0_sel:WORD_1 src1_sel:DWORD
	v_fma_f16 v6, v56, v8, -v6
	v_cvt_f32_f16_e32 v6, v6
	v_cvt_f64_f32_e32 v[4:5], v5
	v_mul_f64 v[4:5], v[4:5], s[2:3]
	v_and_or_b32 v4, v5, s6, v4
	v_cmp_ne_u32_e32 vcc, 0, v4
	v_lshrrev_b32_e32 v9, 8, v5
	v_bfe_u32 v10, v5, 20, 11
	v_cndmask_b32_e64 v4, 0, 1, vcc
	v_and_or_b32 v4, v9, s7, v4
	v_sub_u32_e32 v11, 0x3f1, v10
	v_or_b32_e32 v9, 0x1000, v4
	v_med3_i32 v11, v11, 0, 13
	v_lshrrev_b32_e32 v12, v11, v9
	v_lshlrev_b32_e32 v11, v11, v12
	v_cmp_ne_u32_e32 vcc, v11, v9
	v_add_u32_e32 v10, 0xfffffc10, v10
	v_lshl_or_b32 v11, v10, 12, v4
	v_cndmask_b32_e64 v9, 0, 1, vcc
	v_or_b32_e32 v9, v12, v9
	v_cmp_gt_i32_e32 vcc, 1, v10
	s_nop 1
	v_cndmask_b32_e32 v9, v11, v9, vcc
	v_and_b32_e32 v11, 7, v9
	v_cmp_lt_i32_e32 vcc, 5, v11
	v_cmp_eq_u32_e64 s[0:1], 3, v11
	v_lshrrev_b32_e32 v9, 2, v9
	s_or_b64 vcc, s[0:1], vcc
	v_addc_co_u32_e32 v9, vcc, 0, v9, vcc
	v_cmp_gt_i32_e32 vcc, 31, v10
	s_nop 1
	v_cndmask_b32_e32 v9, v0, v9, vcc
	v_cmp_ne_u32_e32 vcc, 0, v4
	s_nop 1
	v_cndmask_b32_e64 v4, 0, 1, vcc
	v_lshl_or_b32 v4, v4, 9, v0
	v_cmp_eq_u32_e32 vcc, s8, v10
	s_nop 1
	v_cndmask_b32_e32 v8, v9, v4, vcc
	v_and_b32_sdwa v9, v5, s9 dst_sel:DWORD dst_unused:UNUSED_PAD src0_sel:WORD_1 src1_sel:DWORD
	v_cvt_f64_f32_e32 v[4:5], v6
	v_mul_f64 v[4:5], v[4:5], s[2:3]
	v_and_or_b32 v4, v5, s6, v4
	v_cmp_ne_u32_e32 vcc, 0, v4
	v_lshrrev_b32_e32 v6, 8, v5
	v_bfe_u32 v10, v5, 20, 11
	v_cndmask_b32_e64 v4, 0, 1, vcc
	v_and_or_b32 v4, v6, s7, v4
	v_sub_u32_e32 v11, 0x3f1, v10
	v_or_b32_e32 v6, 0x1000, v4
	v_med3_i32 v11, v11, 0, 13
	v_lshrrev_b32_e32 v12, v11, v6
	v_lshlrev_b32_e32 v11, v11, v12
	v_cmp_ne_u32_e32 vcc, v11, v6
	v_add_u32_e32 v10, 0xfffffc10, v10
	v_lshl_or_b32 v11, v10, 12, v4
	v_cndmask_b32_e64 v6, 0, 1, vcc
	v_or_b32_e32 v6, v12, v6
	v_cmp_gt_i32_e32 vcc, 1, v10
	v_lshrrev_b32_e32 v5, 16, v5
	s_nop 0
	v_cndmask_b32_e32 v6, v11, v6, vcc
	v_and_b32_e32 v11, 7, v6
	v_cmp_lt_i32_e32 vcc, 5, v11
	v_cmp_eq_u32_e64 s[0:1], 3, v11
	v_lshrrev_b32_e32 v6, 2, v6
	s_or_b64 vcc, s[0:1], vcc
	v_addc_co_u32_e32 v6, vcc, 0, v6, vcc
	v_cmp_gt_i32_e32 vcc, 31, v10
	v_mad_u64_u32 v[2:3], s[0:1], s4, v1, v[2:3]
	s_nop 0
	v_cndmask_b32_e32 v6, v0, v6, vcc
	v_cmp_ne_u32_e32 vcc, 0, v4
	v_add_u32_e32 v3, s5, v3
	s_nop 0
	v_cndmask_b32_e64 v4, 0, 1, vcc
	v_lshl_or_b32 v4, v4, 9, v0
	v_cmp_eq_u32_e32 vcc, s8, v10
	s_nop 1
	v_cndmask_b32_e32 v4, v6, v4, vcc
	v_and_or_b32 v4, v5, s9, v4
	v_bitop3_b32 v5, v9, s10, v8 bitop3:0xc8
	v_lshrrev_b32_e32 v6, 16, v7
	v_lshl_or_b32 v4, v4, 16, v5
	v_mul_f16_sdwa v5, v55, v6 dst_sel:DWORD dst_unused:UNUSED_PAD src0_sel:WORD_1 src1_sel:DWORD
	v_fma_f16 v5, v55, v7, v5
	v_cvt_f32_f16_e32 v5, v5
	global_store_dword v[2:3], v4, off
	v_mul_f16_sdwa v7, v55, v7 dst_sel:DWORD dst_unused:UNUSED_PAD src0_sel:WORD_1 src1_sel:DWORD
	v_fma_f16 v6, v55, v6, -v7
	v_cvt_f64_f32_e32 v[4:5], v5
	v_mul_f64 v[4:5], v[4:5], s[2:3]
	v_and_or_b32 v4, v5, s6, v4
	v_cmp_ne_u32_e32 vcc, 0, v4
	v_lshrrev_b32_e32 v8, 8, v5
	v_bfe_u32 v9, v5, 20, 11
	v_cndmask_b32_e64 v4, 0, 1, vcc
	v_and_or_b32 v4, v8, s7, v4
	v_sub_u32_e32 v10, 0x3f1, v9
	v_or_b32_e32 v8, 0x1000, v4
	v_med3_i32 v10, v10, 0, 13
	v_lshrrev_b32_e32 v11, v10, v8
	v_lshlrev_b32_e32 v10, v10, v11
	v_cmp_ne_u32_e32 vcc, v10, v8
	v_add_u32_e32 v9, 0xfffffc10, v9
	v_lshl_or_b32 v10, v9, 12, v4
	v_cndmask_b32_e64 v8, 0, 1, vcc
	v_or_b32_e32 v8, v11, v8
	v_cmp_gt_i32_e32 vcc, 1, v9
	v_cvt_f32_f16_e32 v6, v6
	s_nop 0
	v_cndmask_b32_e32 v8, v10, v8, vcc
	v_and_b32_e32 v10, 7, v8
	v_cmp_lt_i32_e32 vcc, 5, v10
	v_cmp_eq_u32_e64 s[0:1], 3, v10
	v_lshrrev_b32_e32 v8, 2, v8
	s_or_b64 vcc, s[0:1], vcc
	v_addc_co_u32_e32 v8, vcc, 0, v8, vcc
	v_cmp_gt_i32_e32 vcc, 31, v9
	s_nop 1
	v_cndmask_b32_e32 v8, v0, v8, vcc
	v_cmp_ne_u32_e32 vcc, 0, v4
	s_nop 1
	v_cndmask_b32_e64 v4, 0, 1, vcc
	v_lshl_or_b32 v4, v4, 9, v0
	v_cmp_eq_u32_e32 vcc, s8, v9
	v_and_b32_sdwa v9, v5, s9 dst_sel:DWORD dst_unused:UNUSED_PAD src0_sel:WORD_1 src1_sel:DWORD
	s_nop 0
	v_cndmask_b32_e32 v8, v8, v4, vcc
	v_cvt_f64_f32_e32 v[4:5], v6
	v_mul_f64 v[4:5], v[4:5], s[2:3]
	v_and_or_b32 v4, v5, s6, v4
	v_cmp_ne_u32_e32 vcc, 0, v4
	v_lshrrev_b32_e32 v6, 8, v5
	v_bfe_u32 v7, v5, 20, 11
	v_cndmask_b32_e64 v4, 0, 1, vcc
	v_and_or_b32 v4, v6, s7, v4
	v_sub_u32_e32 v10, 0x3f1, v7
	v_or_b32_e32 v6, 0x1000, v4
	v_med3_i32 v10, v10, 0, 13
	v_lshrrev_b32_e32 v11, v10, v6
	v_lshlrev_b32_e32 v10, v10, v11
	v_cmp_ne_u32_e32 vcc, v10, v6
	v_add_u32_e32 v7, 0xfffffc10, v7
	v_lshl_or_b32 v10, v7, 12, v4
	v_cndmask_b32_e64 v6, 0, 1, vcc
	v_or_b32_e32 v6, v11, v6
	v_cmp_gt_i32_e32 vcc, 1, v7
	v_lshrrev_b32_e32 v5, 16, v5
	s_nop 0
	v_cndmask_b32_e32 v6, v10, v6, vcc
	v_and_b32_e32 v10, 7, v6
	v_cmp_lt_i32_e32 vcc, 5, v10
	v_cmp_eq_u32_e64 s[0:1], 3, v10
	v_lshrrev_b32_e32 v6, 2, v6
	s_or_b64 vcc, s[0:1], vcc
	v_addc_co_u32_e32 v6, vcc, 0, v6, vcc
	v_cmp_gt_i32_e32 vcc, 31, v7
	v_mad_u64_u32 v[2:3], s[0:1], s4, v1, v[2:3]
	s_nop 0
	v_cndmask_b32_e32 v6, v0, v6, vcc
	v_cmp_ne_u32_e32 vcc, 0, v4
	v_add_u32_e32 v3, s5, v3
	s_nop 0
	v_cndmask_b32_e64 v4, 0, 1, vcc
	v_lshl_or_b32 v4, v4, 9, v0
	v_cmp_eq_u32_e32 vcc, s8, v7
	s_nop 1
	v_cndmask_b32_e32 v4, v6, v4, vcc
	v_add_u32_e32 v6, 0xa00, v54
	ds_read2_b32 v[6:7], v6 offset0:108 offset1:176
	v_and_or_b32 v4, v5, s9, v4
	v_bitop3_b32 v5, v9, s10, v8 bitop3:0xc8
	v_lshl_or_b32 v4, v4, 16, v5
	global_store_dword v[2:3], v4, off
	s_waitcnt lgkmcnt(0)
	v_lshrrev_b32_e32 v8, 16, v6
	v_mul_f16_sdwa v5, v35, v8 dst_sel:DWORD dst_unused:UNUSED_PAD src0_sel:WORD_1 src1_sel:DWORD
	v_fma_f16 v5, v35, v6, v5
	v_cvt_f32_f16_e32 v5, v5
	v_mul_f16_sdwa v6, v35, v6 dst_sel:DWORD dst_unused:UNUSED_PAD src0_sel:WORD_1 src1_sel:DWORD
	v_fma_f16 v6, v35, v8, -v6
	v_cvt_f32_f16_e32 v6, v6
	v_cvt_f64_f32_e32 v[4:5], v5
	v_mul_f64 v[4:5], v[4:5], s[2:3]
	v_and_or_b32 v4, v5, s6, v4
	v_cmp_ne_u32_e32 vcc, 0, v4
	v_lshrrev_b32_e32 v9, 8, v5
	v_bfe_u32 v10, v5, 20, 11
	v_cndmask_b32_e64 v4, 0, 1, vcc
	v_and_or_b32 v4, v9, s7, v4
	v_sub_u32_e32 v11, 0x3f1, v10
	v_or_b32_e32 v9, 0x1000, v4
	v_med3_i32 v11, v11, 0, 13
	v_lshrrev_b32_e32 v12, v11, v9
	v_lshlrev_b32_e32 v11, v11, v12
	v_cmp_ne_u32_e32 vcc, v11, v9
	v_add_u32_e32 v10, 0xfffffc10, v10
	v_lshl_or_b32 v11, v10, 12, v4
	v_cndmask_b32_e64 v9, 0, 1, vcc
	v_or_b32_e32 v9, v12, v9
	v_cmp_gt_i32_e32 vcc, 1, v10
	s_nop 1
	v_cndmask_b32_e32 v9, v11, v9, vcc
	v_and_b32_e32 v11, 7, v9
	v_cmp_lt_i32_e32 vcc, 5, v11
	v_cmp_eq_u32_e64 s[0:1], 3, v11
	v_lshrrev_b32_e32 v9, 2, v9
	s_or_b64 vcc, s[0:1], vcc
	v_addc_co_u32_e32 v9, vcc, 0, v9, vcc
	v_cmp_gt_i32_e32 vcc, 31, v10
	s_nop 1
	v_cndmask_b32_e32 v9, v0, v9, vcc
	v_cmp_ne_u32_e32 vcc, 0, v4
	s_nop 1
	v_cndmask_b32_e64 v4, 0, 1, vcc
	v_lshl_or_b32 v4, v4, 9, v0
	v_cmp_eq_u32_e32 vcc, s8, v10
	s_nop 1
	v_cndmask_b32_e32 v8, v9, v4, vcc
	v_and_b32_sdwa v9, v5, s9 dst_sel:DWORD dst_unused:UNUSED_PAD src0_sel:WORD_1 src1_sel:DWORD
	v_cvt_f64_f32_e32 v[4:5], v6
	v_mul_f64 v[4:5], v[4:5], s[2:3]
	v_and_or_b32 v4, v5, s6, v4
	v_cmp_ne_u32_e32 vcc, 0, v4
	v_lshrrev_b32_e32 v6, 8, v5
	v_bfe_u32 v10, v5, 20, 11
	v_cndmask_b32_e64 v4, 0, 1, vcc
	v_and_or_b32 v4, v6, s7, v4
	v_sub_u32_e32 v11, 0x3f1, v10
	v_or_b32_e32 v6, 0x1000, v4
	v_med3_i32 v11, v11, 0, 13
	v_lshrrev_b32_e32 v12, v11, v6
	v_lshlrev_b32_e32 v11, v11, v12
	v_cmp_ne_u32_e32 vcc, v11, v6
	v_add_u32_e32 v10, 0xfffffc10, v10
	v_lshl_or_b32 v11, v10, 12, v4
	v_cndmask_b32_e64 v6, 0, 1, vcc
	v_or_b32_e32 v6, v12, v6
	v_cmp_gt_i32_e32 vcc, 1, v10
	v_lshrrev_b32_e32 v5, 16, v5
	s_nop 0
	v_cndmask_b32_e32 v6, v11, v6, vcc
	v_and_b32_e32 v11, 7, v6
	v_cmp_lt_i32_e32 vcc, 5, v11
	v_cmp_eq_u32_e64 s[0:1], 3, v11
	v_lshrrev_b32_e32 v6, 2, v6
	s_or_b64 vcc, s[0:1], vcc
	v_addc_co_u32_e32 v6, vcc, 0, v6, vcc
	v_cmp_gt_i32_e32 vcc, 31, v10
	v_mad_u64_u32 v[2:3], s[0:1], s4, v1, v[2:3]
	s_nop 0
	v_cndmask_b32_e32 v6, v0, v6, vcc
	v_cmp_ne_u32_e32 vcc, 0, v4
	v_add_u32_e32 v3, s5, v3
	s_nop 0
	v_cndmask_b32_e64 v4, 0, 1, vcc
	v_lshl_or_b32 v4, v4, 9, v0
	v_cmp_eq_u32_e32 vcc, s8, v10
	s_nop 1
	v_cndmask_b32_e32 v4, v6, v4, vcc
	v_and_or_b32 v4, v5, s9, v4
	v_bitop3_b32 v5, v9, s10, v8 bitop3:0xc8
	v_lshrrev_b32_e32 v6, 16, v7
	v_lshl_or_b32 v4, v4, 16, v5
	v_mul_f16_sdwa v5, v33, v6 dst_sel:DWORD dst_unused:UNUSED_PAD src0_sel:WORD_1 src1_sel:DWORD
	v_fma_f16 v5, v33, v7, v5
	v_cvt_f32_f16_e32 v5, v5
	global_store_dword v[2:3], v4, off
	v_mul_f16_sdwa v7, v33, v7 dst_sel:DWORD dst_unused:UNUSED_PAD src0_sel:WORD_1 src1_sel:DWORD
	v_fma_f16 v6, v33, v6, -v7
	v_cvt_f64_f32_e32 v[4:5], v5
	v_mul_f64 v[4:5], v[4:5], s[2:3]
	v_and_or_b32 v4, v5, s6, v4
	v_cmp_ne_u32_e32 vcc, 0, v4
	v_lshrrev_b32_e32 v8, 8, v5
	v_bfe_u32 v9, v5, 20, 11
	v_cndmask_b32_e64 v4, 0, 1, vcc
	v_and_or_b32 v4, v8, s7, v4
	v_sub_u32_e32 v10, 0x3f1, v9
	v_or_b32_e32 v8, 0x1000, v4
	v_med3_i32 v10, v10, 0, 13
	v_lshrrev_b32_e32 v11, v10, v8
	v_lshlrev_b32_e32 v10, v10, v11
	v_cmp_ne_u32_e32 vcc, v10, v8
	v_add_u32_e32 v9, 0xfffffc10, v9
	v_lshl_or_b32 v10, v9, 12, v4
	v_cndmask_b32_e64 v8, 0, 1, vcc
	v_or_b32_e32 v8, v11, v8
	v_cmp_gt_i32_e32 vcc, 1, v9
	v_cvt_f32_f16_e32 v6, v6
	s_nop 0
	v_cndmask_b32_e32 v8, v10, v8, vcc
	v_and_b32_e32 v10, 7, v8
	v_cmp_lt_i32_e32 vcc, 5, v10
	v_cmp_eq_u32_e64 s[0:1], 3, v10
	v_lshrrev_b32_e32 v8, 2, v8
	s_or_b64 vcc, s[0:1], vcc
	v_addc_co_u32_e32 v8, vcc, 0, v8, vcc
	v_cmp_gt_i32_e32 vcc, 31, v9
	s_nop 1
	v_cndmask_b32_e32 v8, v0, v8, vcc
	v_cmp_ne_u32_e32 vcc, 0, v4
	s_nop 1
	v_cndmask_b32_e64 v4, 0, 1, vcc
	v_lshl_or_b32 v4, v4, 9, v0
	v_cmp_eq_u32_e32 vcc, s8, v9
	s_nop 1
	v_cndmask_b32_e32 v7, v8, v4, vcc
	v_and_b32_sdwa v8, v5, s9 dst_sel:DWORD dst_unused:UNUSED_PAD src0_sel:WORD_1 src1_sel:DWORD
	v_cvt_f64_f32_e32 v[4:5], v6
	v_mul_f64 v[4:5], v[4:5], s[2:3]
	v_and_or_b32 v4, v5, s6, v4
	v_cmp_ne_u32_e32 vcc, 0, v4
	v_lshrrev_b32_e32 v6, 8, v5
	v_bfe_u32 v9, v5, 20, 11
	v_cndmask_b32_e64 v4, 0, 1, vcc
	v_and_or_b32 v4, v6, s7, v4
	v_sub_u32_e32 v10, 0x3f1, v9
	v_or_b32_e32 v6, 0x1000, v4
	v_med3_i32 v10, v10, 0, 13
	v_lshrrev_b32_e32 v11, v10, v6
	v_lshlrev_b32_e32 v10, v10, v11
	v_cmp_ne_u32_e32 vcc, v10, v6
	v_add_u32_e32 v9, 0xfffffc10, v9
	v_lshl_or_b32 v10, v9, 12, v4
	v_cndmask_b32_e64 v6, 0, 1, vcc
	v_or_b32_e32 v6, v11, v6
	v_cmp_gt_i32_e32 vcc, 1, v9
	s_nop 1
	v_cndmask_b32_e32 v6, v10, v6, vcc
	v_and_b32_e32 v10, 7, v6
	v_cmp_lt_i32_e32 vcc, 5, v10
	v_cmp_eq_u32_e64 s[0:1], 3, v10
	v_lshrrev_b32_e32 v6, 2, v6
	s_or_b64 vcc, s[0:1], vcc
	v_addc_co_u32_e32 v6, vcc, 0, v6, vcc
	v_cmp_gt_i32_e32 vcc, 31, v9
	s_nop 1
	v_cndmask_b32_e32 v6, v0, v6, vcc
	v_cmp_ne_u32_e32 vcc, 0, v4
	s_nop 1
	v_cndmask_b32_e64 v4, 0, 1, vcc
	v_lshl_or_b32 v0, v4, 9, v0
	v_cmp_eq_u32_e32 vcc, s8, v9
	v_lshrrev_b32_e32 v4, 16, v5
	s_nop 0
	v_cndmask_b32_e32 v0, v6, v0, vcc
	v_and_or_b32 v0, v4, s9, v0
	v_bitop3_b32 v4, v8, s10, v7 bitop3:0xc8
	v_lshl_or_b32 v4, v0, 16, v4
	v_mad_u64_u32 v[0:1], s[0:1], s4, v1, v[2:3]
	v_add_u32_e32 v1, s5, v1
	global_store_dword v[0:1], v4, off
.LBB0_18:
	s_endpgm
	.section	.rodata,"a",@progbits
	.p2align	6, 0x0
	.amdhsa_kernel bluestein_single_fwd_len884_dim1_half_op_CI_CI
		.amdhsa_group_segment_fixed_size 10608
		.amdhsa_private_segment_fixed_size 0
		.amdhsa_kernarg_size 104
		.amdhsa_user_sgpr_count 2
		.amdhsa_user_sgpr_dispatch_ptr 0
		.amdhsa_user_sgpr_queue_ptr 0
		.amdhsa_user_sgpr_kernarg_segment_ptr 1
		.amdhsa_user_sgpr_dispatch_id 0
		.amdhsa_user_sgpr_kernarg_preload_length 0
		.amdhsa_user_sgpr_kernarg_preload_offset 0
		.amdhsa_user_sgpr_private_segment_size 0
		.amdhsa_uses_dynamic_stack 0
		.amdhsa_enable_private_segment 0
		.amdhsa_system_sgpr_workgroup_id_x 1
		.amdhsa_system_sgpr_workgroup_id_y 0
		.amdhsa_system_sgpr_workgroup_id_z 0
		.amdhsa_system_sgpr_workgroup_info 0
		.amdhsa_system_vgpr_workitem_id 0
		.amdhsa_next_free_vgpr 294
		.amdhsa_next_free_sgpr 37
		.amdhsa_accum_offset 256
		.amdhsa_reserve_vcc 1
		.amdhsa_float_round_mode_32 0
		.amdhsa_float_round_mode_16_64 0
		.amdhsa_float_denorm_mode_32 3
		.amdhsa_float_denorm_mode_16_64 3
		.amdhsa_dx10_clamp 1
		.amdhsa_ieee_mode 1
		.amdhsa_fp16_overflow 0
		.amdhsa_tg_split 0
		.amdhsa_exception_fp_ieee_invalid_op 0
		.amdhsa_exception_fp_denorm_src 0
		.amdhsa_exception_fp_ieee_div_zero 0
		.amdhsa_exception_fp_ieee_overflow 0
		.amdhsa_exception_fp_ieee_underflow 0
		.amdhsa_exception_fp_ieee_inexact 0
		.amdhsa_exception_int_div_zero 0
	.end_amdhsa_kernel
	.text
.Lfunc_end0:
	.size	bluestein_single_fwd_len884_dim1_half_op_CI_CI, .Lfunc_end0-bluestein_single_fwd_len884_dim1_half_op_CI_CI
                                        ; -- End function
	.section	.AMDGPU.csdata,"",@progbits
; Kernel info:
; codeLenInByte = 29404
; NumSgprs: 43
; NumVgprs: 256
; NumAgprs: 38
; TotalNumVgprs: 294
; ScratchSize: 0
; MemoryBound: 0
; FloatMode: 240
; IeeeMode: 1
; LDSByteSize: 10608 bytes/workgroup (compile time only)
; SGPRBlocks: 5
; VGPRBlocks: 36
; NumSGPRsForWavesPerEU: 43
; NumVGPRsForWavesPerEU: 294
; AccumOffset: 256
; Occupancy: 1
; WaveLimiterHint : 1
; COMPUTE_PGM_RSRC2:SCRATCH_EN: 0
; COMPUTE_PGM_RSRC2:USER_SGPR: 2
; COMPUTE_PGM_RSRC2:TRAP_HANDLER: 0
; COMPUTE_PGM_RSRC2:TGID_X_EN: 1
; COMPUTE_PGM_RSRC2:TGID_Y_EN: 0
; COMPUTE_PGM_RSRC2:TGID_Z_EN: 0
; COMPUTE_PGM_RSRC2:TIDIG_COMP_CNT: 0
; COMPUTE_PGM_RSRC3_GFX90A:ACCUM_OFFSET: 63
; COMPUTE_PGM_RSRC3_GFX90A:TG_SPLIT: 0
	.text
	.p2alignl 6, 3212836864
	.fill 256, 4, 3212836864
	.type	__hip_cuid_6847da028d6679af,@object ; @__hip_cuid_6847da028d6679af
	.section	.bss,"aw",@nobits
	.globl	__hip_cuid_6847da028d6679af
__hip_cuid_6847da028d6679af:
	.byte	0                               ; 0x0
	.size	__hip_cuid_6847da028d6679af, 1

	.ident	"AMD clang version 19.0.0git (https://github.com/RadeonOpenCompute/llvm-project roc-6.4.0 25133 c7fe45cf4b819c5991fe208aaa96edf142730f1d)"
	.section	".note.GNU-stack","",@progbits
	.addrsig
	.addrsig_sym __hip_cuid_6847da028d6679af
	.amdgpu_metadata
---
amdhsa.kernels:
  - .agpr_count:     38
    .args:
      - .actual_access:  read_only
        .address_space:  global
        .offset:         0
        .size:           8
        .value_kind:     global_buffer
      - .actual_access:  read_only
        .address_space:  global
        .offset:         8
        .size:           8
        .value_kind:     global_buffer
      - .actual_access:  read_only
        .address_space:  global
        .offset:         16
        .size:           8
        .value_kind:     global_buffer
      - .actual_access:  read_only
        .address_space:  global
        .offset:         24
        .size:           8
        .value_kind:     global_buffer
      - .actual_access:  read_only
        .address_space:  global
        .offset:         32
        .size:           8
        .value_kind:     global_buffer
      - .offset:         40
        .size:           8
        .value_kind:     by_value
      - .address_space:  global
        .offset:         48
        .size:           8
        .value_kind:     global_buffer
      - .address_space:  global
        .offset:         56
        .size:           8
        .value_kind:     global_buffer
      - .address_space:  global
        .offset:         64
        .size:           8
        .value_kind:     global_buffer
      - .address_space:  global
        .offset:         72
        .size:           8
        .value_kind:     global_buffer
      - .offset:         80
        .size:           4
        .value_kind:     by_value
      - .address_space:  global
        .offset:         88
        .size:           8
        .value_kind:     global_buffer
      - .address_space:  global
        .offset:         96
        .size:           8
        .value_kind:     global_buffer
    .group_segment_fixed_size: 10608
    .kernarg_segment_align: 8
    .kernarg_segment_size: 104
    .language:       OpenCL C
    .language_version:
      - 2
      - 0
    .max_flat_workgroup_size: 204
    .name:           bluestein_single_fwd_len884_dim1_half_op_CI_CI
    .private_segment_fixed_size: 0
    .sgpr_count:     43
    .sgpr_spill_count: 0
    .symbol:         bluestein_single_fwd_len884_dim1_half_op_CI_CI.kd
    .uniform_work_group_size: 1
    .uses_dynamic_stack: false
    .vgpr_count:     294
    .vgpr_spill_count: 0
    .wavefront_size: 64
amdhsa.target:   amdgcn-amd-amdhsa--gfx950
amdhsa.version:
  - 1
  - 2
...

	.end_amdgpu_metadata
